;; amdgpu-corpus repo=ROCm/rocFFT kind=compiled arch=gfx1030 opt=O3
	.text
	.amdgcn_target "amdgcn-amd-amdhsa--gfx1030"
	.amdhsa_code_object_version 6
	.protected	fft_rtc_fwd_len2160_factors_10_6_6_6_wgs_60_tpt_60_halfLds_dp_op_CI_CI_unitstride_sbrr_C2R_dirReg ; -- Begin function fft_rtc_fwd_len2160_factors_10_6_6_6_wgs_60_tpt_60_halfLds_dp_op_CI_CI_unitstride_sbrr_C2R_dirReg
	.globl	fft_rtc_fwd_len2160_factors_10_6_6_6_wgs_60_tpt_60_halfLds_dp_op_CI_CI_unitstride_sbrr_C2R_dirReg
	.p2align	8
	.type	fft_rtc_fwd_len2160_factors_10_6_6_6_wgs_60_tpt_60_halfLds_dp_op_CI_CI_unitstride_sbrr_C2R_dirReg,@function
fft_rtc_fwd_len2160_factors_10_6_6_6_wgs_60_tpt_60_halfLds_dp_op_CI_CI_unitstride_sbrr_C2R_dirReg: ; @fft_rtc_fwd_len2160_factors_10_6_6_6_wgs_60_tpt_60_halfLds_dp_op_CI_CI_unitstride_sbrr_C2R_dirReg
; %bb.0:
	s_clause 0x2
	s_load_dwordx4 s[12:15], s[4:5], 0x0
	s_load_dwordx4 s[8:11], s[4:5], 0x58
	;; [unrolled: 1-line block ×3, first 2 shown]
	v_mul_u32_u24_e32 v1, 0x445, v0
	v_mov_b32_e32 v3, 0
	v_add_nc_u32_sdwa v5, s6, v1 dst_sel:DWORD dst_unused:UNUSED_PAD src0_sel:DWORD src1_sel:WORD_1
	v_mov_b32_e32 v1, 0
	v_mov_b32_e32 v6, v3
	v_mov_b32_e32 v2, 0
	s_waitcnt lgkmcnt(0)
	v_cmp_lt_u64_e64 s0, s[14:15], 2
	s_and_b32 vcc_lo, exec_lo, s0
	s_cbranch_vccnz .LBB0_8
; %bb.1:
	s_load_dwordx2 s[0:1], s[4:5], 0x10
	v_mov_b32_e32 v1, 0
	v_mov_b32_e32 v2, 0
	s_add_u32 s2, s18, 8
	s_addc_u32 s3, s19, 0
	s_add_u32 s6, s16, 8
	s_addc_u32 s7, s17, 0
	v_mov_b32_e32 v163, v2
	v_mov_b32_e32 v162, v1
	s_mov_b64 s[22:23], 1
	s_waitcnt lgkmcnt(0)
	s_add_u32 s20, s0, 8
	s_addc_u32 s21, s1, 0
.LBB0_2:                                ; =>This Inner Loop Header: Depth=1
	s_load_dwordx2 s[24:25], s[20:21], 0x0
                                        ; implicit-def: $vgpr164_vgpr165
	s_mov_b32 s0, exec_lo
	s_waitcnt lgkmcnt(0)
	v_or_b32_e32 v4, s25, v6
	v_cmpx_ne_u64_e32 0, v[3:4]
	s_xor_b32 s1, exec_lo, s0
	s_cbranch_execz .LBB0_4
; %bb.3:                                ;   in Loop: Header=BB0_2 Depth=1
	v_cvt_f32_u32_e32 v4, s24
	v_cvt_f32_u32_e32 v7, s25
	s_sub_u32 s0, 0, s24
	s_subb_u32 s26, 0, s25
	v_fmac_f32_e32 v4, 0x4f800000, v7
	v_rcp_f32_e32 v4, v4
	v_mul_f32_e32 v4, 0x5f7ffffc, v4
	v_mul_f32_e32 v7, 0x2f800000, v4
	v_trunc_f32_e32 v7, v7
	v_fmac_f32_e32 v4, 0xcf800000, v7
	v_cvt_u32_f32_e32 v7, v7
	v_cvt_u32_f32_e32 v4, v4
	v_mul_lo_u32 v8, s0, v7
	v_mul_hi_u32 v9, s0, v4
	v_mul_lo_u32 v10, s26, v4
	v_add_nc_u32_e32 v8, v9, v8
	v_mul_lo_u32 v9, s0, v4
	v_add_nc_u32_e32 v8, v8, v10
	v_mul_hi_u32 v10, v4, v9
	v_mul_lo_u32 v11, v4, v8
	v_mul_hi_u32 v12, v4, v8
	v_mul_hi_u32 v13, v7, v9
	v_mul_lo_u32 v9, v7, v9
	v_mul_hi_u32 v14, v7, v8
	v_mul_lo_u32 v8, v7, v8
	v_add_co_u32 v10, vcc_lo, v10, v11
	v_add_co_ci_u32_e32 v11, vcc_lo, 0, v12, vcc_lo
	v_add_co_u32 v9, vcc_lo, v10, v9
	v_add_co_ci_u32_e32 v9, vcc_lo, v11, v13, vcc_lo
	v_add_co_ci_u32_e32 v10, vcc_lo, 0, v14, vcc_lo
	v_add_co_u32 v8, vcc_lo, v9, v8
	v_add_co_ci_u32_e32 v9, vcc_lo, 0, v10, vcc_lo
	v_add_co_u32 v4, vcc_lo, v4, v8
	v_add_co_ci_u32_e32 v7, vcc_lo, v7, v9, vcc_lo
	v_mul_hi_u32 v8, s0, v4
	v_mul_lo_u32 v10, s26, v4
	v_mul_lo_u32 v9, s0, v7
	v_add_nc_u32_e32 v8, v8, v9
	v_mul_lo_u32 v9, s0, v4
	v_add_nc_u32_e32 v8, v8, v10
	v_mul_hi_u32 v10, v4, v9
	v_mul_lo_u32 v11, v4, v8
	v_mul_hi_u32 v12, v4, v8
	v_mul_hi_u32 v13, v7, v9
	v_mul_lo_u32 v9, v7, v9
	v_mul_hi_u32 v14, v7, v8
	v_mul_lo_u32 v8, v7, v8
	v_add_co_u32 v10, vcc_lo, v10, v11
	v_add_co_ci_u32_e32 v11, vcc_lo, 0, v12, vcc_lo
	v_add_co_u32 v9, vcc_lo, v10, v9
	v_add_co_ci_u32_e32 v9, vcc_lo, v11, v13, vcc_lo
	v_add_co_ci_u32_e32 v10, vcc_lo, 0, v14, vcc_lo
	v_add_co_u32 v8, vcc_lo, v9, v8
	v_add_co_ci_u32_e32 v9, vcc_lo, 0, v10, vcc_lo
	v_add_co_u32 v4, vcc_lo, v4, v8
	v_add_co_ci_u32_e32 v11, vcc_lo, v7, v9, vcc_lo
	v_mul_hi_u32 v13, v5, v4
	v_mad_u64_u32 v[9:10], null, v6, v4, 0
	v_mad_u64_u32 v[7:8], null, v5, v11, 0
	;; [unrolled: 1-line block ×3, first 2 shown]
	v_add_co_u32 v4, vcc_lo, v13, v7
	v_add_co_ci_u32_e32 v7, vcc_lo, 0, v8, vcc_lo
	v_add_co_u32 v4, vcc_lo, v4, v9
	v_add_co_ci_u32_e32 v4, vcc_lo, v7, v10, vcc_lo
	v_add_co_ci_u32_e32 v7, vcc_lo, 0, v12, vcc_lo
	v_add_co_u32 v4, vcc_lo, v4, v11
	v_add_co_ci_u32_e32 v9, vcc_lo, 0, v7, vcc_lo
	v_mul_lo_u32 v10, s25, v4
	v_mad_u64_u32 v[7:8], null, s24, v4, 0
	v_mul_lo_u32 v11, s24, v9
	v_sub_co_u32 v7, vcc_lo, v5, v7
	v_add3_u32 v8, v8, v11, v10
	v_sub_nc_u32_e32 v10, v6, v8
	v_subrev_co_ci_u32_e64 v10, s0, s25, v10, vcc_lo
	v_add_co_u32 v11, s0, v4, 2
	v_add_co_ci_u32_e64 v12, s0, 0, v9, s0
	v_sub_co_u32 v13, s0, v7, s24
	v_sub_co_ci_u32_e32 v8, vcc_lo, v6, v8, vcc_lo
	v_subrev_co_ci_u32_e64 v10, s0, 0, v10, s0
	v_cmp_le_u32_e32 vcc_lo, s24, v13
	v_cmp_eq_u32_e64 s0, s25, v8
	v_cndmask_b32_e64 v13, 0, -1, vcc_lo
	v_cmp_le_u32_e32 vcc_lo, s25, v10
	v_cndmask_b32_e64 v14, 0, -1, vcc_lo
	v_cmp_le_u32_e32 vcc_lo, s24, v7
	;; [unrolled: 2-line block ×3, first 2 shown]
	v_cndmask_b32_e64 v15, 0, -1, vcc_lo
	v_cmp_eq_u32_e32 vcc_lo, s25, v10
	v_cndmask_b32_e64 v7, v15, v7, s0
	v_cndmask_b32_e32 v10, v14, v13, vcc_lo
	v_add_co_u32 v13, vcc_lo, v4, 1
	v_add_co_ci_u32_e32 v14, vcc_lo, 0, v9, vcc_lo
	v_cmp_ne_u32_e32 vcc_lo, 0, v10
	v_cndmask_b32_e32 v8, v14, v12, vcc_lo
	v_cndmask_b32_e32 v10, v13, v11, vcc_lo
	v_cmp_ne_u32_e32 vcc_lo, 0, v7
	v_cndmask_b32_e32 v165, v9, v8, vcc_lo
	v_cndmask_b32_e32 v164, v4, v10, vcc_lo
.LBB0_4:                                ;   in Loop: Header=BB0_2 Depth=1
	s_andn2_saveexec_b32 s0, s1
	s_cbranch_execz .LBB0_6
; %bb.5:                                ;   in Loop: Header=BB0_2 Depth=1
	v_cvt_f32_u32_e32 v4, s24
	s_sub_i32 s1, 0, s24
	v_mov_b32_e32 v165, v3
	v_rcp_iflag_f32_e32 v4, v4
	v_mul_f32_e32 v4, 0x4f7ffffe, v4
	v_cvt_u32_f32_e32 v4, v4
	v_mul_lo_u32 v7, s1, v4
	v_mul_hi_u32 v7, v4, v7
	v_add_nc_u32_e32 v4, v4, v7
	v_mul_hi_u32 v4, v5, v4
	v_mul_lo_u32 v7, v4, s24
	v_add_nc_u32_e32 v8, 1, v4
	v_sub_nc_u32_e32 v7, v5, v7
	v_subrev_nc_u32_e32 v9, s24, v7
	v_cmp_le_u32_e32 vcc_lo, s24, v7
	v_cndmask_b32_e32 v7, v7, v9, vcc_lo
	v_cndmask_b32_e32 v4, v4, v8, vcc_lo
	v_cmp_le_u32_e32 vcc_lo, s24, v7
	v_add_nc_u32_e32 v8, 1, v4
	v_cndmask_b32_e32 v164, v4, v8, vcc_lo
.LBB0_6:                                ;   in Loop: Header=BB0_2 Depth=1
	s_or_b32 exec_lo, exec_lo, s0
	v_mul_lo_u32 v4, v165, s24
	v_mul_lo_u32 v9, v164, s25
	s_load_dwordx2 s[0:1], s[6:7], 0x0
	v_mad_u64_u32 v[7:8], null, v164, s24, 0
	s_load_dwordx2 s[24:25], s[2:3], 0x0
	s_add_u32 s22, s22, 1
	s_addc_u32 s23, s23, 0
	s_add_u32 s2, s2, 8
	s_addc_u32 s3, s3, 0
	s_add_u32 s6, s6, 8
	v_add3_u32 v4, v8, v9, v4
	v_sub_co_u32 v5, vcc_lo, v5, v7
	s_addc_u32 s7, s7, 0
	s_add_u32 s20, s20, 8
	v_sub_co_ci_u32_e32 v4, vcc_lo, v6, v4, vcc_lo
	s_addc_u32 s21, s21, 0
	s_waitcnt lgkmcnt(0)
	v_mul_lo_u32 v6, s0, v4
	v_mul_lo_u32 v7, s1, v5
	v_mad_u64_u32 v[1:2], null, s0, v5, v[1:2]
	v_mul_lo_u32 v4, s24, v4
	v_mul_lo_u32 v8, s25, v5
	v_mad_u64_u32 v[162:163], null, s24, v5, v[162:163]
	v_cmp_ge_u64_e64 s0, s[22:23], s[14:15]
	v_add3_u32 v2, v7, v2, v6
	v_add3_u32 v163, v8, v163, v4
	s_and_b32 vcc_lo, exec_lo, s0
	s_cbranch_vccnz .LBB0_9
; %bb.7:                                ;   in Loop: Header=BB0_2 Depth=1
	v_mov_b32_e32 v5, v164
	v_mov_b32_e32 v6, v165
	s_branch .LBB0_2
.LBB0_8:
	v_mov_b32_e32 v163, v2
	v_mov_b32_e32 v165, v6
	;; [unrolled: 1-line block ×4, first 2 shown]
.LBB0_9:
	s_load_dwordx2 s[0:1], s[4:5], 0x28
	v_mul_hi_u32 v3, 0x4444445, v0
	s_lshl_b64 s[4:5], s[14:15], 3
                                        ; implicit-def: $vgpr160
	s_add_u32 s2, s18, s4
	s_addc_u32 s3, s19, s5
	s_waitcnt lgkmcnt(0)
	v_cmp_gt_u64_e32 vcc_lo, s[0:1], v[164:165]
	v_cmp_le_u64_e64 s0, s[0:1], v[164:165]
	s_and_saveexec_b32 s1, s0
	s_xor_b32 s0, exec_lo, s1
; %bb.10:
	v_mul_u32_u24_e32 v1, 60, v3
                                        ; implicit-def: $vgpr3
	v_sub_nc_u32_e32 v160, v0, v1
                                        ; implicit-def: $vgpr0
                                        ; implicit-def: $vgpr1_vgpr2
; %bb.11:
	s_or_saveexec_b32 s1, s0
	s_load_dwordx2 s[2:3], s[2:3], 0x0
	s_xor_b32 exec_lo, exec_lo, s1
	s_cbranch_execz .LBB0_15
; %bb.12:
	s_add_u32 s4, s16, s4
	s_addc_u32 s5, s17, s5
	v_mul_u32_u24_e32 v3, 60, v3
	s_load_dwordx2 s[4:5], s[4:5], 0x0
	v_sub_nc_u32_e32 v160, v0, v3
	v_lshlrev_b64 v[0:1], 4, v[1:2]
	v_lshlrev_b32_e32 v146, 4, v160
	s_waitcnt lgkmcnt(0)
	v_mul_lo_u32 v6, s5, v164
	v_mul_lo_u32 v7, s4, v165
	v_mad_u64_u32 v[4:5], null, s4, v164, 0
	v_add3_u32 v5, v5, v7, v6
	v_lshlrev_b64 v[3:4], 4, v[4:5]
	v_add_co_u32 v2, s0, s8, v3
	v_add_co_ci_u32_e64 v3, s0, s9, v4, s0
	v_or_b32_e32 v4, 0x3c00, v146
	v_add_co_u32 v0, s0, v2, v0
	v_add_co_ci_u32_e64 v1, s0, v3, v1, s0
	v_or_b32_e32 v2, 0x7800, v146
	v_add_co_u32 v94, s0, v0, v146
	v_add_co_ci_u32_e64 v95, s0, 0, v1, s0
	v_add_co_u32 v10, s0, v0, v2
	v_add_co_ci_u32_e64 v11, s0, 0, v1, s0
	v_add_co_u32 v46, s0, v0, v4
	v_add_co_ci_u32_e64 v47, s0, 0, v1, s0
	v_add_co_u32 v22, s0, 0x800, v94
	v_add_co_ci_u32_e64 v23, s0, 0, v95, s0
	v_add_co_u32 v30, s0, 0x1000, v94
	v_add_co_ci_u32_e64 v31, s0, 0, v95, s0
	v_add_co_u32 v38, s0, 0x1800, v94
	v_add_co_ci_u32_e64 v39, s0, 0, v95, s0
	v_add_co_u32 v54, s0, 0x2000, v94
	v_add_co_ci_u32_e64 v55, s0, 0, v95, s0
	v_add_co_u32 v74, s0, 0x3800, v94
	v_add_co_ci_u32_e64 v75, s0, 0, v95, s0
	v_add_co_u32 v62, s0, 0x2800, v94
	v_add_co_ci_u32_e64 v63, s0, 0, v95, s0
	v_add_co_u32 v138, s0, 0x7800, v94
	v_add_co_ci_u32_e64 v139, s0, 0, v95, s0
	v_add_co_u32 v70, s0, 0x3000, v94
	v_add_co_ci_u32_e64 v71, s0, 0, v95, s0
	v_add_co_u32 v82, s0, 0x4000, v94
	v_add_co_ci_u32_e64 v83, s0, 0, v95, s0
	v_add_co_u32 v90, s0, 0x4800, v94
	v_add_co_ci_u32_e64 v91, s0, 0, v95, s0
	v_add_co_u32 v98, s0, 0x5000, v94
	v_add_co_ci_u32_e64 v99, s0, 0, v95, s0
	v_add_co_u32 v106, s0, 0x5800, v94
	v_add_co_ci_u32_e64 v107, s0, 0, v95, s0
	v_add_co_u32 v114, s0, 0x6000, v94
	v_add_co_ci_u32_e64 v115, s0, 0, v95, s0
	v_add_co_u32 v122, s0, 0x6800, v94
	v_add_co_ci_u32_e64 v123, s0, 0, v95, s0
	v_add_co_u32 v130, s0, 0x7000, v94
	v_add_co_ci_u32_e64 v131, s0, 0, v95, s0
	v_add_co_u32 v142, s0, 0x8000, v94
	v_add_co_ci_u32_e64 v143, s0, 0, v95, s0
	s_clause 0x23
	global_load_dwordx4 v[2:5], v[94:95], off
	global_load_dwordx4 v[6:9], v[94:95], off offset:960
	global_load_dwordx4 v[10:13], v[10:11], off
	global_load_dwordx4 v[14:17], v[94:95], off offset:1920
	global_load_dwordx4 v[18:21], v[22:23], off offset:832
	;; [unrolled: 1-line block ×8, first 2 shown]
	global_load_dwordx4 v[46:49], v[46:47], off
	global_load_dwordx4 v[50:53], v[74:75], off offset:1984
	global_load_dwordx4 v[54:57], v[54:55], off offset:1408
	;; [unrolled: 1-line block ×24, first 2 shown]
	v_add_nc_u32_e32 v146, 0, v146
	v_cmp_eq_u32_e64 s0, 59, v160
	s_waitcnt vmcnt(35)
	ds_write_b128 v146, v[2:5]
	s_waitcnt vmcnt(34)
	ds_write_b128 v146, v[6:9] offset:960
	s_waitcnt vmcnt(32)
	ds_write_b128 v146, v[14:17] offset:1920
	;; [unrolled: 2-line block ×3, first 2 shown]
	ds_write_b128 v146, v[10:13] offset:30720
	ds_write_b128 v146, v[18:21] offset:2880
	;; [unrolled: 1-line block ×8, first 2 shown]
	s_waitcnt vmcnt(22)
	ds_write_b128 v146, v[54:57] offset:9600
	s_waitcnt vmcnt(21)
	ds_write_b128 v146, v[58:61] offset:10560
	s_waitcnt vmcnt(20)
	ds_write_b128 v146, v[62:65] offset:11520
	s_waitcnt vmcnt(19)
	ds_write_b128 v146, v[66:69] offset:12480
	s_waitcnt vmcnt(18)
	ds_write_b128 v146, v[70:73] offset:13440
	s_waitcnt vmcnt(17)
	ds_write_b128 v146, v[74:77] offset:14400
	ds_write_b128 v146, v[50:53] offset:16320
	s_waitcnt vmcnt(16)
	ds_write_b128 v146, v[78:81] offset:17280
	s_waitcnt vmcnt(15)
	;; [unrolled: 2-line block ×17, first 2 shown]
	ds_write_b128 v146, v[142:145] offset:33600
	s_and_saveexec_b32 s4, s0
	s_cbranch_execz .LBB0_14
; %bb.13:
	v_add_co_u32 v0, s0, 0x8000, v0
	v_add_co_ci_u32_e64 v1, s0, 0, v1, s0
	v_mov_b32_e32 v4, 0
	v_mov_b32_e32 v160, 59
	global_load_dwordx4 v[0:3], v[0:1], off offset:1792
	s_waitcnt vmcnt(0)
	ds_write_b128 v4, v[0:3] offset:34560
.LBB0_14:
	s_or_b32 exec_lo, exec_lo, s4
.LBB0_15:
	s_or_b32 exec_lo, exec_lo, s1
	v_lshlrev_b32_e32 v0, 4, v160
	s_waitcnt lgkmcnt(0)
	s_barrier
	buffer_gl0_inv
	s_add_u32 s1, s12, 0x8660
	v_add_nc_u32_e32 v176, 0, v0
	v_sub_nc_u32_e32 v10, 0, v0
	s_addc_u32 s4, s13, 0
	s_mov_b32 s5, exec_lo
                                        ; implicit-def: $vgpr4_vgpr5
	ds_read_b64 v[6:7], v176
	ds_read_b64 v[8:9], v10 offset:34560
	s_waitcnt lgkmcnt(0)
	v_add_f64 v[0:1], v[6:7], v[8:9]
	v_add_f64 v[2:3], v[6:7], -v[8:9]
	v_cmpx_ne_u32_e32 0, v160
	s_xor_b32 s5, exec_lo, s5
	s_cbranch_execz .LBB0_17
; %bb.16:
	v_mov_b32_e32 v161, 0
	v_add_f64 v[13:14], v[6:7], v[8:9]
	v_add_f64 v[15:16], v[6:7], -v[8:9]
	v_lshlrev_b64 v[0:1], 4, v[160:161]
	v_add_co_u32 v0, s0, s1, v0
	v_add_co_ci_u32_e64 v1, s0, s4, v1, s0
	global_load_dwordx4 v[2:5], v[0:1], off
	ds_read_b64 v[0:1], v10 offset:34568
	ds_read_b64 v[11:12], v176 offset:8
	s_waitcnt lgkmcnt(0)
	v_add_f64 v[6:7], v[0:1], v[11:12]
	v_add_f64 v[0:1], v[11:12], -v[0:1]
	s_waitcnt vmcnt(0)
	v_fma_f64 v[8:9], v[15:16], v[4:5], v[13:14]
	v_fma_f64 v[11:12], -v[15:16], v[4:5], v[13:14]
	v_fma_f64 v[13:14], v[6:7], v[4:5], -v[0:1]
	v_fma_f64 v[4:5], v[6:7], v[4:5], v[0:1]
	v_fma_f64 v[0:1], -v[6:7], v[2:3], v[8:9]
	v_fma_f64 v[6:7], v[6:7], v[2:3], v[11:12]
	v_fma_f64 v[8:9], v[15:16], v[2:3], v[13:14]
	;; [unrolled: 1-line block ×3, first 2 shown]
	v_mov_b32_e32 v4, v160
	v_mov_b32_e32 v5, v161
	ds_write_b128 v10, v[6:9] offset:34560
.LBB0_17:
	s_andn2_saveexec_b32 s0, s5
	s_cbranch_execz .LBB0_19
; %bb.18:
	v_mov_b32_e32 v8, 0
	ds_read_b128 v[4:7], v8 offset:17280
	s_waitcnt lgkmcnt(0)
	v_add_f64 v[11:12], v[4:5], v[4:5]
	v_mul_f64 v[13:14], v[6:7], -2.0
	v_mov_b32_e32 v4, 0
	v_mov_b32_e32 v5, 0
	ds_write_b128 v8, v[11:14] offset:17280
.LBB0_19:
	s_or_b32 exec_lo, exec_lo, s0
	ds_write_b128 v176, v[0:3]
	ds_read_b128 v[0:3], v176 offset:960
	ds_read_b128 v[6:9], v10 offset:33600
	s_mov_b32 s15, 0xbfee6f0e
	s_mov_b32 s6, 0x4755a5e
	;; [unrolled: 1-line block ×9, first 2 shown]
	s_waitcnt lgkmcnt(0)
	v_add_f64 v[11:12], v[0:1], v[6:7]
	v_add_f64 v[15:16], v[0:1], -v[6:7]
	v_lshlrev_b64 v[0:1], 4, v[4:5]
	v_add_f64 v[13:14], v[8:9], v[2:3]
	v_add_f64 v[17:18], v[2:3], -v[8:9]
	v_add_co_u32 v0, s0, s1, v0
	v_add_co_ci_u32_e64 v1, s0, s4, v1, s0
	v_add_co_u32 v19, s0, 0x800, v0
	global_load_dwordx4 v[2:5], v[0:1], off offset:960
	v_add_co_ci_u32_e64 v20, s0, 0, v1, s0
	s_waitcnt vmcnt(0)
	v_fma_f64 v[6:7], v[15:16], v[4:5], v[11:12]
	v_fma_f64 v[8:9], v[13:14], v[4:5], v[17:18]
	v_fma_f64 v[6:7], -v[13:14], v[2:3], v[6:7]
	v_fma_f64 v[8:9], v[15:16], v[2:3], v[8:9]
	ds_write_b128 v176, v[6:9] offset:960
	v_fma_f64 v[6:7], -v[15:16], v[4:5], v[11:12]
	v_fma_f64 v[4:5], v[13:14], v[4:5], -v[17:18]
	v_fma_f64 v[6:7], v[13:14], v[2:3], v[6:7]
	v_fma_f64 v[8:9], v[15:16], v[2:3], v[4:5]
	ds_write_b128 v10, v[6:9] offset:33600
	ds_read_b128 v[2:5], v176 offset:1920
	ds_read_b128 v[6:9], v10 offset:32640
	s_waitcnt lgkmcnt(0)
	v_add_f64 v[11:12], v[2:3], v[6:7]
	v_add_f64 v[13:14], v[8:9], v[4:5]
	v_add_f64 v[15:16], v[2:3], -v[6:7]
	v_add_f64 v[17:18], v[4:5], -v[8:9]
	global_load_dwordx4 v[2:5], v[0:1], off offset:1920
	s_waitcnt vmcnt(0)
	v_fma_f64 v[6:7], v[15:16], v[4:5], v[11:12]
	v_fma_f64 v[8:9], v[13:14], v[4:5], v[17:18]
	v_fma_f64 v[6:7], -v[13:14], v[2:3], v[6:7]
	v_fma_f64 v[8:9], v[15:16], v[2:3], v[8:9]
	ds_write_b128 v176, v[6:9] offset:1920
	v_fma_f64 v[6:7], -v[15:16], v[4:5], v[11:12]
	v_fma_f64 v[4:5], v[13:14], v[4:5], -v[17:18]
	v_fma_f64 v[6:7], v[13:14], v[2:3], v[6:7]
	v_fma_f64 v[8:9], v[15:16], v[2:3], v[4:5]
	ds_write_b128 v10, v[6:9] offset:32640
	ds_read_b128 v[2:5], v176 offset:2880
	ds_read_b128 v[6:9], v10 offset:31680
	s_waitcnt lgkmcnt(0)
	v_add_f64 v[11:12], v[2:3], v[6:7]
	v_add_f64 v[13:14], v[8:9], v[4:5]
	v_add_f64 v[15:16], v[2:3], -v[6:7]
	v_add_f64 v[17:18], v[4:5], -v[8:9]
	global_load_dwordx4 v[2:5], v[19:20], off offset:832
	;; [unrolled: 19-line block ×3, first 2 shown]
	v_add_co_u32 v19, s0, 0x1000, v0
	v_add_co_ci_u32_e64 v20, s0, 0, v1, s0
	s_waitcnt vmcnt(0)
	v_fma_f64 v[6:7], v[15:16], v[4:5], v[11:12]
	v_fma_f64 v[8:9], v[13:14], v[4:5], v[17:18]
	v_fma_f64 v[6:7], -v[13:14], v[2:3], v[6:7]
	v_fma_f64 v[8:9], v[15:16], v[2:3], v[8:9]
	ds_write_b128 v176, v[6:9] offset:3840
	v_fma_f64 v[6:7], -v[15:16], v[4:5], v[11:12]
	v_fma_f64 v[4:5], v[13:14], v[4:5], -v[17:18]
	v_fma_f64 v[6:7], v[13:14], v[2:3], v[6:7]
	v_fma_f64 v[8:9], v[15:16], v[2:3], v[4:5]
	ds_write_b128 v10, v[6:9] offset:30720
	ds_read_b128 v[2:5], v176 offset:4800
	ds_read_b128 v[6:9], v10 offset:29760
	s_waitcnt lgkmcnt(0)
	v_add_f64 v[11:12], v[2:3], v[6:7]
	v_add_f64 v[13:14], v[8:9], v[4:5]
	v_add_f64 v[15:16], v[2:3], -v[6:7]
	v_add_f64 v[17:18], v[4:5], -v[8:9]
	global_load_dwordx4 v[2:5], v[19:20], off offset:704
	s_waitcnt vmcnt(0)
	v_fma_f64 v[6:7], v[15:16], v[4:5], v[11:12]
	v_fma_f64 v[8:9], v[13:14], v[4:5], v[17:18]
	v_fma_f64 v[6:7], -v[13:14], v[2:3], v[6:7]
	v_fma_f64 v[8:9], v[15:16], v[2:3], v[8:9]
	ds_write_b128 v176, v[6:9] offset:4800
	v_fma_f64 v[6:7], -v[15:16], v[4:5], v[11:12]
	v_fma_f64 v[4:5], v[13:14], v[4:5], -v[17:18]
	v_fma_f64 v[6:7], v[13:14], v[2:3], v[6:7]
	v_fma_f64 v[8:9], v[15:16], v[2:3], v[4:5]
	ds_write_b128 v10, v[6:9] offset:29760
	ds_read_b128 v[2:5], v176 offset:5760
	ds_read_b128 v[6:9], v10 offset:28800
	s_waitcnt lgkmcnt(0)
	v_add_f64 v[11:12], v[2:3], v[6:7]
	v_add_f64 v[13:14], v[8:9], v[4:5]
	v_add_f64 v[15:16], v[2:3], -v[6:7]
	v_add_f64 v[17:18], v[4:5], -v[8:9]
	global_load_dwordx4 v[2:5], v[19:20], off offset:1664
	v_add_co_u32 v19, s0, 0x1800, v0
	v_add_co_ci_u32_e64 v20, s0, 0, v1, s0
	s_waitcnt vmcnt(0)
	v_fma_f64 v[6:7], v[15:16], v[4:5], v[11:12]
	v_fma_f64 v[8:9], v[13:14], v[4:5], v[17:18]
	v_fma_f64 v[6:7], -v[13:14], v[2:3], v[6:7]
	v_fma_f64 v[8:9], v[15:16], v[2:3], v[8:9]
	ds_write_b128 v176, v[6:9] offset:5760
	v_fma_f64 v[6:7], -v[15:16], v[4:5], v[11:12]
	v_fma_f64 v[4:5], v[13:14], v[4:5], -v[17:18]
	v_fma_f64 v[6:7], v[13:14], v[2:3], v[6:7]
	v_fma_f64 v[8:9], v[15:16], v[2:3], v[4:5]
	ds_write_b128 v10, v[6:9] offset:28800
	ds_read_b128 v[2:5], v176 offset:6720
	ds_read_b128 v[6:9], v10 offset:27840
	s_waitcnt lgkmcnt(0)
	v_add_f64 v[11:12], v[2:3], v[6:7]
	v_add_f64 v[13:14], v[8:9], v[4:5]
	v_add_f64 v[15:16], v[2:3], -v[6:7]
	v_add_f64 v[17:18], v[4:5], -v[8:9]
	global_load_dwordx4 v[2:5], v[19:20], off offset:576
	s_waitcnt vmcnt(0)
	v_fma_f64 v[6:7], v[15:16], v[4:5], v[11:12]
	v_fma_f64 v[8:9], v[13:14], v[4:5], v[17:18]
	v_fma_f64 v[6:7], -v[13:14], v[2:3], v[6:7]
	v_fma_f64 v[8:9], v[15:16], v[2:3], v[8:9]
	ds_write_b128 v176, v[6:9] offset:6720
	v_fma_f64 v[6:7], -v[15:16], v[4:5], v[11:12]
	v_fma_f64 v[4:5], v[13:14], v[4:5], -v[17:18]
	v_fma_f64 v[6:7], v[13:14], v[2:3], v[6:7]
	v_fma_f64 v[8:9], v[15:16], v[2:3], v[4:5]
	ds_write_b128 v10, v[6:9] offset:27840
	ds_read_b128 v[2:5], v176 offset:7680
	ds_read_b128 v[6:9], v10 offset:26880
	s_waitcnt lgkmcnt(0)
	v_add_f64 v[11:12], v[2:3], v[6:7]
	v_add_f64 v[13:14], v[8:9], v[4:5]
	v_add_f64 v[15:16], v[2:3], -v[6:7]
	v_add_f64 v[17:18], v[4:5], -v[8:9]
	global_load_dwordx4 v[2:5], v[19:20], off offset:1536
	;; [unrolled: 40-line block ×5, first 2 shown]
	s_waitcnt vmcnt(0)
	v_fma_f64 v[6:7], v[15:16], v[4:5], v[11:12]
	v_fma_f64 v[8:9], v[13:14], v[4:5], v[17:18]
	v_fma_f64 v[6:7], -v[13:14], v[2:3], v[6:7]
	v_fma_f64 v[8:9], v[15:16], v[2:3], v[8:9]
	ds_write_b128 v176, v[6:9] offset:13440
	v_fma_f64 v[6:7], -v[15:16], v[4:5], v[11:12]
	v_fma_f64 v[4:5], v[13:14], v[4:5], -v[17:18]
	v_add_co_u32 v17, s0, 0x3800, v0
	v_add_co_ci_u32_e64 v18, s0, 0, v1, s0
	v_fma_f64 v[6:7], v[13:14], v[2:3], v[6:7]
	v_fma_f64 v[8:9], v[15:16], v[2:3], v[4:5]
	ds_write_b128 v10, v[6:9] offset:21120
	ds_read_b128 v[2:5], v176 offset:14400
	ds_read_b128 v[6:9], v10 offset:20160
	s_waitcnt lgkmcnt(0)
	v_add_f64 v[11:12], v[2:3], v[6:7]
	v_add_f64 v[15:16], v[2:3], -v[6:7]
	global_load_dwordx4 v[0:3], v[17:18], off offset:64
	v_add_f64 v[13:14], v[8:9], v[4:5]
	v_add_f64 v[8:9], v[4:5], -v[8:9]
	s_waitcnt vmcnt(0)
	v_fma_f64 v[4:5], v[15:16], v[2:3], v[11:12]
	v_fma_f64 v[6:7], v[13:14], v[2:3], v[8:9]
	v_fma_f64 v[4:5], -v[13:14], v[0:1], v[4:5]
	v_fma_f64 v[6:7], v[15:16], v[0:1], v[6:7]
	ds_write_b128 v176, v[4:7] offset:14400
	v_fma_f64 v[4:5], -v[15:16], v[2:3], v[11:12]
	v_fma_f64 v[2:3], v[13:14], v[2:3], -v[8:9]
	v_or_b32_e32 v8, 0x3c0, v160
	v_mov_b32_e32 v9, 0
	v_fma_f64 v[4:5], v[13:14], v[0:1], v[4:5]
	v_fma_f64 v[6:7], v[15:16], v[0:1], v[2:3]
	ds_write_b128 v10, v[4:7] offset:20160
	ds_read_b128 v[0:3], v176 offset:15360
	ds_read_b128 v[4:7], v10 offset:19200
	s_waitcnt lgkmcnt(0)
	v_add_f64 v[11:12], v[0:1], v[4:5]
	v_add_f64 v[15:16], v[0:1], -v[4:5]
	v_lshlrev_b64 v[0:1], 4, v[8:9]
	v_add_f64 v[13:14], v[6:7], v[2:3]
	v_add_f64 v[19:20], v[2:3], -v[6:7]
	v_add_co_u32 v0, s0, s1, v0
	v_add_co_ci_u32_e64 v1, s0, s4, v1, s0
	s_mov_b32 s4, 0x134454ff
	s_mov_b32 s5, 0x3fee6f0e
	;; [unrolled: 1-line block ×3, first 2 shown]
	global_load_dwordx4 v[0:3], v[0:1], off
	s_mov_b32 s1, exec_lo
	s_waitcnt vmcnt(0)
	v_fma_f64 v[4:5], v[15:16], v[2:3], v[11:12]
	v_fma_f64 v[6:7], v[13:14], v[2:3], v[19:20]
	v_fma_f64 v[4:5], -v[13:14], v[0:1], v[4:5]
	v_fma_f64 v[6:7], v[15:16], v[0:1], v[6:7]
	ds_write_b128 v176, v[4:7] offset:15360
	v_fma_f64 v[4:5], -v[15:16], v[2:3], v[11:12]
	v_fma_f64 v[2:3], v[13:14], v[2:3], -v[19:20]
	v_fma_f64 v[4:5], v[13:14], v[0:1], v[4:5]
	v_fma_f64 v[6:7], v[15:16], v[0:1], v[2:3]
	ds_write_b128 v10, v[4:7] offset:19200
	ds_read_b128 v[0:3], v176 offset:16320
	ds_read_b128 v[4:7], v10 offset:18240
	s_waitcnt lgkmcnt(0)
	v_add_f64 v[8:9], v[0:1], v[4:5]
	v_add_f64 v[11:12], v[6:7], v[2:3]
	v_add_f64 v[13:14], v[0:1], -v[4:5]
	v_add_f64 v[15:16], v[2:3], -v[6:7]
	global_load_dwordx4 v[0:3], v[17:18], off offset:1984
	s_waitcnt vmcnt(0)
	v_fma_f64 v[4:5], v[13:14], v[2:3], v[8:9]
	v_fma_f64 v[6:7], v[11:12], v[2:3], v[15:16]
	v_fma_f64 v[4:5], -v[11:12], v[0:1], v[4:5]
	v_fma_f64 v[6:7], v[13:14], v[0:1], v[6:7]
	ds_write_b128 v176, v[4:7] offset:16320
	v_fma_f64 v[4:5], -v[13:14], v[2:3], v[8:9]
	v_fma_f64 v[2:3], v[11:12], v[2:3], -v[15:16]
	v_fma_f64 v[4:5], v[11:12], v[0:1], v[4:5]
	v_fma_f64 v[6:7], v[13:14], v[0:1], v[2:3]
	ds_write_b128 v10, v[4:7] offset:18240
	s_waitcnt lgkmcnt(0)
	s_barrier
	buffer_gl0_inv
	s_barrier
	buffer_gl0_inv
	ds_read_b128 v[108:111], v176
	ds_read_b128 v[96:99], v176 offset:3456
	ds_read_b128 v[100:103], v176 offset:6912
	;; [unrolled: 1-line block ×39, first 2 shown]
	s_waitcnt lgkmcnt(33)
	v_add_f64 v[168:169], v[104:105], v[112:113]
	s_waitcnt lgkmcnt(31)
	v_add_f64 v[172:173], v[102:103], -v[118:119]
	v_add_f64 v[174:175], v[106:107], -v[114:115]
	;; [unrolled: 1-line block ×4, first 2 shown]
	v_add_f64 v[166:167], v[108:109], v[100:101]
	v_add_f64 v[181:182], v[112:113], -v[116:117]
	s_waitcnt lgkmcnt(0)
	s_barrier
	buffer_gl0_inv
	v_fma_f64 v[170:171], v[168:169], -0.5, v[108:109]
	v_add_f64 v[177:178], v[177:178], v[179:180]
	v_add_f64 v[179:180], v[104:105], -v[100:101]
	v_add_f64 v[166:167], v[166:167], v[104:105]
	v_add_f64 v[104:105], v[104:105], -v[112:113]
	v_fma_f64 v[168:169], v[172:173], s[4:5], v[170:171]
	v_fma_f64 v[170:171], v[172:173], s[14:15], v[170:171]
	v_add_f64 v[179:180], v[179:180], v[181:182]
	v_add_f64 v[166:167], v[166:167], v[112:113]
	v_fma_f64 v[168:169], v[174:175], s[6:7], v[168:169]
	v_fma_f64 v[170:171], v[174:175], s[16:17], v[170:171]
	v_add_f64 v[166:167], v[166:167], v[116:117]
	v_fma_f64 v[168:169], v[177:178], s[8:9], v[168:169]
	v_fma_f64 v[170:171], v[177:178], s[8:9], v[170:171]
	v_add_f64 v[177:178], v[100:101], v[116:117]
	v_add_f64 v[100:101], v[100:101], -v[116:117]
	v_fma_f64 v[108:109], v[177:178], -0.5, v[108:109]
	v_fma_f64 v[177:178], v[174:175], s[14:15], v[108:109]
	v_fma_f64 v[108:109], v[174:175], s[4:5], v[108:109]
	;; [unrolled: 1-line block ×6, first 2 shown]
	v_add_f64 v[108:109], v[110:111], v[102:103]
	v_add_f64 v[179:180], v[118:119], -v[114:115]
	v_add_f64 v[108:109], v[108:109], v[106:107]
	v_add_f64 v[108:109], v[108:109], v[114:115]
	;; [unrolled: 1-line block ×4, first 2 shown]
	v_fma_f64 v[108:109], v[108:109], -0.5, v[110:111]
	v_fma_f64 v[116:117], v[100:101], s[14:15], v[108:109]
	v_fma_f64 v[108:109], v[100:101], s[4:5], v[108:109]
	;; [unrolled: 1-line block ×3, first 2 shown]
	v_add_f64 v[116:117], v[102:103], -v[106:107]
	v_fma_f64 v[108:109], v[104:105], s[6:7], v[108:109]
	v_add_f64 v[116:117], v[116:117], v[179:180]
	v_fma_f64 v[181:182], v[116:117], s[8:9], v[108:109]
	v_add_f64 v[108:109], v[102:103], v[118:119]
	v_add_f64 v[102:103], v[106:107], -v[102:103]
	v_add_f64 v[106:107], v[114:115], -v[118:119]
	v_fma_f64 v[179:180], v[116:117], s[8:9], v[112:113]
	v_fma_f64 v[108:109], v[108:109], -0.5, v[110:111]
	v_add_f64 v[102:103], v[102:103], v[106:107]
	v_add_f64 v[106:107], v[86:87], -v[90:91]
	v_fma_f64 v[110:111], v[104:105], s[4:5], v[108:109]
	v_fma_f64 v[104:105], v[104:105], s[14:15], v[108:109]
	v_add_f64 v[108:109], v[80:81], -v[84:85]
	v_fma_f64 v[110:111], v[100:101], s[16:17], v[110:111]
	v_fma_f64 v[100:101], v[100:101], s[6:7], v[104:105]
	;; [unrolled: 1-line block ×4, first 2 shown]
	v_add_f64 v[100:101], v[96:97], v[80:81]
	v_add_f64 v[102:103], v[82:83], -v[94:95]
	v_add_f64 v[110:111], v[92:93], -v[88:89]
	v_add_f64 v[100:101], v[100:101], v[84:85]
	v_add_f64 v[108:109], v[108:109], v[110:111]
	;; [unrolled: 1-line block ×5, first 2 shown]
	v_fma_f64 v[100:101], v[100:101], -0.5, v[96:97]
	v_fma_f64 v[104:105], v[102:103], s[4:5], v[100:101]
	v_fma_f64 v[100:101], v[102:103], s[14:15], v[100:101]
	v_fma_f64 v[104:105], v[106:107], s[6:7], v[104:105]
	v_fma_f64 v[100:101], v[106:107], s[16:17], v[100:101]
	v_fma_f64 v[110:111], v[108:109], s[8:9], v[104:105]
	v_fma_f64 v[118:119], v[108:109], s[8:9], v[100:101]
	v_add_f64 v[100:101], v[80:81], v[92:93]
	v_add_f64 v[104:105], v[84:85], -v[80:81]
	v_add_f64 v[108:109], v[88:89], -v[92:93]
	;; [unrolled: 1-line block ×4, first 2 shown]
	v_fma_f64 v[96:97], v[100:101], -0.5, v[96:97]
	v_add_f64 v[104:105], v[104:105], v[108:109]
	v_fma_f64 v[100:101], v[106:107], s[14:15], v[96:97]
	v_fma_f64 v[96:97], v[106:107], s[4:5], v[96:97]
	;; [unrolled: 1-line block ×4, first 2 shown]
	v_add_f64 v[102:103], v[94:95], -v[90:91]
	v_fma_f64 v[114:115], v[104:105], s[8:9], v[100:101]
	v_add_f64 v[100:101], v[98:99], v[82:83]
	v_fma_f64 v[96:97], v[104:105], s[8:9], v[96:97]
	v_add_f64 v[100:101], v[100:101], v[86:87]
	v_add_f64 v[100:101], v[100:101], v[90:91]
	;; [unrolled: 1-line block ×4, first 2 shown]
	v_fma_f64 v[100:101], v[100:101], -0.5, v[98:99]
	v_fma_f64 v[92:93], v[80:81], s[14:15], v[100:101]
	v_fma_f64 v[100:101], v[80:81], s[4:5], v[100:101]
	;; [unrolled: 1-line block ×3, first 2 shown]
	v_add_f64 v[92:93], v[82:83], -v[86:87]
	v_fma_f64 v[100:101], v[84:85], s[6:7], v[100:101]
	v_add_f64 v[92:93], v[92:93], v[102:103]
	v_add_f64 v[102:103], v[174:175], v[189:190]
	v_fma_f64 v[88:89], v[92:93], s[8:9], v[88:89]
	v_fma_f64 v[92:93], v[92:93], s[8:9], v[100:101]
	v_add_f64 v[100:101], v[82:83], v[94:95]
	v_add_f64 v[82:83], v[86:87], -v[82:83]
	v_add_f64 v[86:87], v[90:91], -v[94:95]
	v_mul_f64 v[90:91], v[96:97], s[8:9]
	v_mul_f64 v[94:95], v[118:119], s[18:19]
	v_fma_f64 v[98:99], v[100:101], -0.5, v[98:99]
	v_add_f64 v[82:83], v[82:83], v[86:87]
	v_fma_f64 v[94:95], v[92:93], s[6:7], -v[94:95]
	v_fma_f64 v[100:101], v[84:85], s[4:5], v[98:99]
	v_fma_f64 v[84:85], v[84:85], s[14:15], v[98:99]
	v_mul_f64 v[98:99], v[110:111], s[16:17]
	v_add_f64 v[116:117], v[170:171], v[94:95]
	v_fma_f64 v[100:101], v[80:81], s[16:17], v[100:101]
	v_fma_f64 v[80:81], v[80:81], s[6:7], v[84:85]
	;; [unrolled: 1-line block ×3, first 2 shown]
	v_add_f64 v[98:99], v[174:175], -v[189:190]
	v_add_f64 v[174:175], v[142:143], -v[150:151]
	v_fma_f64 v[86:87], v[82:83], s[8:9], v[100:101]
	v_fma_f64 v[80:81], v[82:83], s[8:9], v[80:81]
	v_mul_f64 v[82:83], v[110:111], s[18:19]
	v_add_f64 v[106:107], v[179:180], v[191:192]
	v_add_f64 v[100:101], v[166:167], v[187:188]
	v_mul_f64 v[84:85], v[86:87], s[4:5]
	v_fma_f64 v[90:91], v[80:81], s[4:5], -v[90:91]
	v_fma_f64 v[82:83], v[88:89], s[6:7], v[82:83]
	v_mul_f64 v[80:81], v[80:81], s[8:9]
	v_mul_f64 v[88:89], v[114:115], s[14:15]
	v_fma_f64 v[84:85], v[114:115], s[8:9], v[84:85]
	v_add_f64 v[112:113], v[172:173], v[90:91]
	v_add_f64 v[104:105], v[168:169], v[82:83]
	v_fma_f64 v[193:194], v[96:97], s[14:15], -v[80:81]
	v_mul_f64 v[80:81], v[92:93], s[18:19]
	v_add_f64 v[92:93], v[168:169], -v[82:83]
	v_add_f64 v[168:169], v[152:153], v[144:145]
	v_fma_f64 v[86:87], v[86:87], s[8:9], v[88:89]
	v_add_f64 v[96:97], v[166:167], -v[187:188]
	v_add_f64 v[166:167], v[156:157], v[140:141]
	v_add_f64 v[108:109], v[177:178], v[84:85]
	v_add_f64 v[88:89], v[177:178], -v[84:85]
	v_add_f64 v[84:85], v[172:173], -v[90:91]
	;; [unrolled: 1-line block ×3, first 2 shown]
	v_fma_f64 v[195:196], v[118:119], s[16:17], -v[80:81]
	v_add_f64 v[80:81], v[170:171], -v[94:95]
	v_fma_f64 v[170:171], v[168:169], -0.5, v[156:157]
	v_add_f64 v[94:95], v[179:180], -v[191:192]
	v_add_f64 v[172:173], v[140:141], -v[152:153]
	;; [unrolled: 1-line block ×3, first 2 shown]
	v_add_f64 v[166:167], v[166:167], v[152:153]
	v_add_f64 v[110:111], v[183:184], v[86:87]
	;; [unrolled: 1-line block ×3, first 2 shown]
	v_add_f64 v[90:91], v[183:184], -v[86:87]
	v_add_f64 v[86:87], v[185:186], -v[193:194]
	v_add_f64 v[118:119], v[181:182], v[195:196]
	v_add_f64 v[82:83], v[181:182], -v[195:196]
	v_fma_f64 v[168:169], v[174:175], s[4:5], v[170:171]
	v_fma_f64 v[170:171], v[174:175], s[14:15], v[170:171]
	v_add_f64 v[181:182], v[144:145], -v[148:149]
	v_add_f64 v[172:173], v[172:173], v[179:180]
	v_add_f64 v[179:180], v[152:153], -v[140:141]
	v_add_f64 v[166:167], v[166:167], v[144:145]
	v_add_f64 v[144:145], v[152:153], -v[144:145]
	v_add_f64 v[152:153], v[142:143], -v[154:155]
	v_fma_f64 v[168:169], v[177:178], s[6:7], v[168:169]
	v_fma_f64 v[170:171], v[177:178], s[16:17], v[170:171]
	v_add_f64 v[179:180], v[179:180], v[181:182]
	v_add_f64 v[166:167], v[166:167], v[148:149]
	v_fma_f64 v[168:169], v[172:173], s[8:9], v[168:169]
	v_fma_f64 v[170:171], v[172:173], s[8:9], v[170:171]
	v_add_f64 v[172:173], v[140:141], v[148:149]
	v_add_f64 v[140:141], v[140:141], -v[148:149]
	v_fma_f64 v[156:157], v[172:173], -0.5, v[156:157]
	v_fma_f64 v[172:173], v[177:178], s[14:15], v[156:157]
	v_fma_f64 v[156:157], v[177:178], s[4:5], v[156:157]
	;; [unrolled: 1-line block ×6, first 2 shown]
	v_add_f64 v[156:157], v[158:159], v[142:143]
	v_add_f64 v[179:180], v[150:151], -v[146:147]
	v_add_f64 v[156:157], v[156:157], v[154:155]
	v_add_f64 v[152:153], v[152:153], v[179:180]
	;; [unrolled: 1-line block ×5, first 2 shown]
	v_add_f64 v[146:147], v[146:147], -v[150:151]
	v_fma_f64 v[156:157], v[156:157], -0.5, v[158:159]
	v_fma_f64 v[148:149], v[140:141], s[14:15], v[156:157]
	v_fma_f64 v[148:149], v[144:145], s[16:17], v[148:149]
	;; [unrolled: 1-line block ×6, first 2 shown]
	v_add_f64 v[148:149], v[142:143], v[150:151]
	v_add_f64 v[142:143], v[154:155], -v[142:143]
	v_add_f64 v[150:151], v[128:129], -v[124:125]
	v_fma_f64 v[148:149], v[148:149], -0.5, v[158:159]
	v_add_f64 v[142:143], v[142:143], v[146:147]
	v_add_f64 v[146:147], v[134:135], -v[126:127]
	v_fma_f64 v[152:153], v[144:145], s[4:5], v[148:149]
	v_fma_f64 v[144:145], v[144:145], s[14:15], v[148:149]
	v_add_f64 v[148:149], v[120:121], -v[132:133]
	v_fma_f64 v[152:153], v[140:141], s[16:17], v[152:153]
	v_fma_f64 v[140:141], v[140:141], s[6:7], v[144:145]
	v_add_f64 v[148:149], v[148:149], v[150:151]
	v_fma_f64 v[183:184], v[142:143], s[8:9], v[152:153]
	v_fma_f64 v[185:186], v[142:143], s[8:9], v[140:141]
	v_add_f64 v[140:141], v[136:137], v[120:121]
	v_add_f64 v[142:143], v[122:123], -v[130:131]
	v_add_f64 v[140:141], v[140:141], v[132:133]
	v_add_f64 v[140:141], v[140:141], v[124:125]
	;; [unrolled: 1-line block ×4, first 2 shown]
	v_fma_f64 v[140:141], v[140:141], -0.5, v[136:137]
	v_fma_f64 v[144:145], v[142:143], s[4:5], v[140:141]
	v_fma_f64 v[140:141], v[142:143], s[14:15], v[140:141]
	;; [unrolled: 1-line block ×6, first 2 shown]
	v_add_f64 v[140:141], v[120:121], v[128:129]
	v_add_f64 v[144:145], v[132:133], -v[120:121]
	v_add_f64 v[148:149], v[124:125], -v[128:129]
	;; [unrolled: 1-line block ×5, first 2 shown]
	v_fma_f64 v[136:137], v[140:141], -0.5, v[136:137]
	v_add_f64 v[144:145], v[144:145], v[148:149]
	v_fma_f64 v[140:141], v[146:147], s[14:15], v[136:137]
	v_fma_f64 v[136:137], v[146:147], s[4:5], v[136:137]
	;; [unrolled: 1-line block ×4, first 2 shown]
	v_add_f64 v[142:143], v[130:131], -v[126:127]
	v_fma_f64 v[154:155], v[144:145], s[8:9], v[140:141]
	v_add_f64 v[140:141], v[138:139], v[122:123]
	v_add_f64 v[132:133], v[132:133], v[142:143]
	v_fma_f64 v[136:137], v[144:145], s[8:9], v[136:137]
	v_add_f64 v[140:141], v[140:141], v[134:135]
	v_add_f64 v[140:141], v[140:141], v[126:127]
	;; [unrolled: 1-line block ×4, first 2 shown]
	v_add_f64 v[126:127], v[126:127], -v[130:131]
	v_add_f64 v[142:143], v[177:178], v[189:190]
	v_fma_f64 v[140:141], v[140:141], -0.5, v[138:139]
	v_fma_f64 v[128:129], v[120:121], s[14:15], v[140:141]
	v_fma_f64 v[140:141], v[120:121], s[4:5], v[140:141]
	;; [unrolled: 1-line block ×6, first 2 shown]
	v_add_f64 v[140:141], v[122:123], v[130:131]
	v_add_f64 v[122:123], v[134:135], -v[122:123]
	v_mul_f64 v[130:131], v[136:137], s[8:9]
	v_mul_f64 v[134:135], v[158:159], s[18:19]
	v_fma_f64 v[138:139], v[140:141], -0.5, v[138:139]
	v_add_f64 v[122:123], v[122:123], v[126:127]
	v_fma_f64 v[134:135], v[132:133], s[6:7], -v[134:135]
	v_fma_f64 v[140:141], v[124:125], s[4:5], v[138:139]
	v_fma_f64 v[124:125], v[124:125], s[14:15], v[138:139]
	v_mul_f64 v[138:139], v[150:151], s[16:17]
	v_add_f64 v[156:157], v[170:171], v[134:135]
	v_fma_f64 v[140:141], v[120:121], s[16:17], v[140:141]
	v_fma_f64 v[120:121], v[120:121], s[6:7], v[124:125]
	;; [unrolled: 1-line block ×3, first 2 shown]
	v_add_f64 v[138:139], v[177:178], -v[189:190]
	v_add_f64 v[177:178], v[68:69], -v[72:73]
	v_fma_f64 v[126:127], v[122:123], s[8:9], v[140:141]
	v_fma_f64 v[120:121], v[122:123], s[8:9], v[120:121]
	v_mul_f64 v[122:123], v[150:151], s[18:19]
	v_add_f64 v[146:147], v[179:180], v[191:192]
	v_add_f64 v[140:141], v[166:167], v[187:188]
	v_mul_f64 v[124:125], v[126:127], s[4:5]
	v_fma_f64 v[130:131], v[120:121], s[4:5], -v[130:131]
	v_fma_f64 v[122:123], v[128:129], s[6:7], v[122:123]
	v_mul_f64 v[120:121], v[120:121], s[8:9]
	v_mul_f64 v[128:129], v[154:155], s[14:15]
	v_fma_f64 v[124:125], v[154:155], s[8:9], v[124:125]
	v_add_f64 v[152:153], v[174:175], v[130:131]
	v_add_f64 v[144:145], v[168:169], v[122:123]
	v_fma_f64 v[193:194], v[136:137], s[14:15], -v[120:121]
	v_mul_f64 v[120:121], v[132:133], s[18:19]
	v_add_f64 v[132:133], v[168:169], -v[122:123]
	v_add_f64 v[168:169], v[72:73], v[60:61]
	v_fma_f64 v[126:127], v[126:127], s[8:9], v[128:129]
	v_add_f64 v[136:137], v[166:167], -v[187:188]
	v_add_f64 v[166:167], v[76:77], v[68:69]
	v_add_f64 v[148:149], v[172:173], v[124:125]
	v_add_f64 v[128:129], v[172:173], -v[124:125]
	v_add_f64 v[172:173], v[70:71], -v[66:67]
	;; [unrolled: 1-line block ×3, first 2 shown]
	v_fma_f64 v[195:196], v[158:159], s[16:17], -v[120:121]
	v_add_f64 v[120:121], v[170:171], -v[134:135]
	v_fma_f64 v[170:171], v[168:169], -0.5, v[76:77]
	v_add_f64 v[134:135], v[179:180], -v[191:192]
	v_add_f64 v[174:175], v[74:75], -v[62:63]
	;; [unrolled: 1-line block ×3, first 2 shown]
	v_add_f64 v[166:167], v[166:167], v[72:73]
	v_add_f64 v[150:151], v[183:184], v[126:127]
	v_add_f64 v[130:131], v[183:184], -v[126:127]
	v_add_f64 v[154:155], v[185:186], v[193:194]
	v_add_f64 v[126:127], v[185:186], -v[193:194]
	;; [unrolled: 2-line block ×3, first 2 shown]
	v_fma_f64 v[168:169], v[172:173], s[4:5], v[170:171]
	v_fma_f64 v[170:171], v[172:173], s[14:15], v[170:171]
	v_add_f64 v[181:182], v[60:61], -v[64:65]
	v_add_f64 v[177:178], v[177:178], v[179:180]
	v_add_f64 v[166:167], v[166:167], v[60:61]
	v_add_f64 v[179:180], v[72:73], -v[68:69]
	v_add_f64 v[72:73], v[72:73], -v[60:61]
	v_fma_f64 v[168:169], v[174:175], s[6:7], v[168:169]
	v_fma_f64 v[170:171], v[174:175], s[16:17], v[170:171]
	v_add_f64 v[166:167], v[166:167], v[64:65]
	v_add_f64 v[179:180], v[179:180], v[181:182]
	v_fma_f64 v[168:169], v[177:178], s[8:9], v[168:169]
	v_fma_f64 v[170:171], v[177:178], s[8:9], v[170:171]
	v_add_f64 v[177:178], v[68:69], v[64:65]
	v_add_f64 v[68:69], v[68:69], -v[64:65]
	v_fma_f64 v[177:178], v[177:178], -0.5, v[76:77]
	v_fma_f64 v[76:77], v[174:175], s[14:15], v[177:178]
	v_fma_f64 v[174:175], v[174:175], s[4:5], v[177:178]
	v_add_f64 v[177:178], v[74:75], v[62:63]
	v_fma_f64 v[76:77], v[172:173], s[6:7], v[76:77]
	v_fma_f64 v[172:173], v[172:173], s[16:17], v[174:175]
	v_fma_f64 v[177:178], v[177:178], -0.5, v[78:79]
	v_add_f64 v[174:175], v[78:79], v[70:71]
	v_fma_f64 v[76:77], v[179:180], s[8:9], v[76:77]
	v_fma_f64 v[172:173], v[179:180], s[8:9], v[172:173]
	;; [unrolled: 1-line block ×3, first 2 shown]
	v_add_f64 v[179:180], v[66:67], -v[62:63]
	v_fma_f64 v[177:178], v[68:69], s[4:5], v[177:178]
	v_add_f64 v[174:175], v[174:175], v[74:75]
	v_fma_f64 v[60:61], v[72:73], s[16:17], v[64:65]
	v_add_f64 v[64:65], v[70:71], -v[74:75]
	v_fma_f64 v[177:178], v[72:73], s[6:7], v[177:178]
	v_add_f64 v[174:175], v[174:175], v[62:63]
	v_add_f64 v[62:63], v[62:63], -v[66:67]
	v_add_f64 v[64:65], v[64:65], v[179:180]
	v_add_f64 v[174:175], v[174:175], v[66:67]
	v_fma_f64 v[60:61], v[64:65], s[8:9], v[60:61]
	v_fma_f64 v[64:65], v[64:65], s[8:9], v[177:178]
	v_add_f64 v[177:178], v[70:71], v[66:67]
	v_add_f64 v[70:71], v[74:75], -v[70:71]
	v_fma_f64 v[78:79], v[177:178], -0.5, v[78:79]
	v_add_f64 v[62:63], v[70:71], v[62:63]
	v_fma_f64 v[177:178], v[72:73], s[4:5], v[78:79]
	v_fma_f64 v[66:67], v[72:73], s[14:15], v[78:79]
	v_add_f64 v[72:73], v[54:55], -v[42:43]
	v_add_f64 v[78:79], v[48:49], -v[52:53]
	v_fma_f64 v[177:178], v[68:69], s[16:17], v[177:178]
	v_fma_f64 v[66:67], v[68:69], s[6:7], v[66:67]
	v_add_f64 v[68:69], v[50:51], -v[46:47]
	v_fma_f64 v[189:190], v[62:63], s[8:9], v[177:178]
	v_fma_f64 v[62:63], v[62:63], s[8:9], v[66:67]
	v_add_f64 v[66:67], v[56:57], v[48:49]
	v_add_f64 v[177:178], v[44:45], -v[40:41]
	v_add_f64 v[66:67], v[66:67], v[52:53]
	v_add_f64 v[78:79], v[78:79], v[177:178]
	v_add_f64 v[177:178], v[40:41], -v[44:45]
	v_add_f64 v[66:67], v[66:67], v[40:41]
	v_add_f64 v[74:75], v[66:67], v[44:45]
	;; [unrolled: 1-line block ×3, first 2 shown]
	v_add_f64 v[40:41], v[52:53], -v[40:41]
	v_fma_f64 v[66:67], v[66:67], -0.5, v[56:57]
	v_fma_f64 v[70:71], v[68:69], s[4:5], v[66:67]
	v_fma_f64 v[66:67], v[68:69], s[14:15], v[66:67]
	v_fma_f64 v[70:71], v[72:73], s[6:7], v[70:71]
	v_fma_f64 v[66:67], v[72:73], s[16:17], v[66:67]
	v_fma_f64 v[179:180], v[78:79], s[8:9], v[70:71]
	v_fma_f64 v[78:79], v[78:79], s[8:9], v[66:67]
	v_add_f64 v[66:67], v[48:49], v[44:45]
	v_add_f64 v[70:71], v[52:53], -v[48:49]
	v_add_f64 v[44:45], v[48:49], -v[44:45]
	;; [unrolled: 1-line block ×3, first 2 shown]
	v_fma_f64 v[56:57], v[66:67], -0.5, v[56:57]
	v_add_f64 v[70:71], v[70:71], v[177:178]
	v_fma_f64 v[66:67], v[72:73], s[14:15], v[56:57]
	v_fma_f64 v[56:57], v[72:73], s[4:5], v[56:57]
	;; [unrolled: 1-line block ×4, first 2 shown]
	v_add_f64 v[68:69], v[46:47], -v[42:43]
	v_fma_f64 v[183:184], v[70:71], s[8:9], v[66:67]
	v_add_f64 v[66:67], v[58:59], v[50:51]
	v_add_f64 v[52:53], v[52:53], v[68:69]
	v_fma_f64 v[56:57], v[70:71], s[8:9], v[56:57]
	v_add_f64 v[66:67], v[66:67], v[54:55]
	v_add_f64 v[66:67], v[66:67], v[42:43]
	;; [unrolled: 1-line block ×4, first 2 shown]
	v_add_f64 v[42:43], v[42:43], -v[46:47]
	v_add_f64 v[68:69], v[174:175], v[191:192]
	v_fma_f64 v[66:67], v[66:67], -0.5, v[58:59]
	v_fma_f64 v[48:49], v[44:45], s[14:15], v[66:67]
	v_fma_f64 v[66:67], v[44:45], s[4:5], v[66:67]
	;; [unrolled: 1-line block ×6, first 2 shown]
	v_add_f64 v[66:67], v[50:51], v[46:47]
	v_add_f64 v[50:51], v[54:55], -v[50:51]
	v_mul_f64 v[54:55], v[78:79], s[18:19]
	v_fma_f64 v[58:59], v[66:67], -0.5, v[58:59]
	v_add_f64 v[42:43], v[50:51], v[42:43]
	v_mul_f64 v[50:51], v[56:57], s[8:9]
	v_fma_f64 v[54:55], v[52:53], s[6:7], -v[54:55]
	v_fma_f64 v[66:67], v[40:41], s[4:5], v[58:59]
	v_fma_f64 v[40:41], v[40:41], s[14:15], v[58:59]
	v_mul_f64 v[58:59], v[179:180], s[16:17]
	v_add_f64 v[185:186], v[170:171], v[54:55]
	v_fma_f64 v[66:67], v[44:45], s[16:17], v[66:67]
	v_fma_f64 v[40:41], v[44:45], s[6:7], v[40:41]
	;; [unrolled: 1-line block ×5, first 2 shown]
	v_mul_f64 v[42:43], v[179:180], s[18:19]
	v_add_f64 v[66:67], v[166:167], v[74:75]
	v_add_f64 v[72:73], v[60:61], v[58:59]
	v_add_f64 v[74:75], v[166:167], -v[74:75]
	v_mul_f64 v[44:45], v[46:47], s[4:5]
	v_fma_f64 v[50:51], v[40:41], s[4:5], -v[50:51]
	v_mul_f64 v[40:41], v[40:41], s[8:9]
	v_fma_f64 v[42:43], v[48:49], s[6:7], v[42:43]
	v_mul_f64 v[48:49], v[183:184], s[14:15]
	v_fma_f64 v[44:45], v[183:184], s[8:9], v[44:45]
	v_add_f64 v[181:182], v[172:173], v[50:51]
	v_fma_f64 v[56:57], v[56:57], s[14:15], -v[40:41]
	v_mul_f64 v[40:41], v[52:53], s[18:19]
	v_fma_f64 v[46:47], v[46:47], s[8:9], v[48:49]
	v_add_f64 v[70:71], v[168:169], v[42:43]
	v_add_f64 v[52:53], v[168:169], -v[42:43]
	v_add_f64 v[177:178], v[76:77], v[44:45]
	v_add_f64 v[48:49], v[76:77], -v[44:45]
	v_add_f64 v[183:184], v[62:63], v[56:57]
	v_fma_f64 v[78:79], v[78:79], s[16:17], -v[40:41]
	v_add_f64 v[179:180], v[189:190], v[46:47]
	v_add_f64 v[44:45], v[172:173], -v[50:51]
	v_add_f64 v[50:51], v[189:190], -v[46:47]
	;; [unrolled: 1-line block ×3, first 2 shown]
	v_mul_u32_u24_e32 v56, 10, v160
	v_add_f64 v[40:41], v[170:171], -v[54:55]
	v_add_f64 v[76:77], v[174:175], -v[191:192]
	;; [unrolled: 1-line block ×3, first 2 shown]
	v_lshl_add_u32 v56, v56, 4, 0
	v_add_f64 v[187:188], v[64:65], v[78:79]
	v_add_f64 v[42:43], v[64:65], -v[78:79]
	ds_write_b128 v56, v[100:103]
	ds_write_b128 v56, v[104:107] offset:16
	ds_write_b128 v56, v[108:111] offset:32
	;; [unrolled: 1-line block ×29, first 2 shown]
	v_cmpx_gt_u32_e32 36, v160
	s_cbranch_execz .LBB0_21
; %bb.20:
	v_add_f64 v[42:43], v[38:39], v[6:7]
	v_add_f64 v[44:45], v[36:37], v[4:5]
	;; [unrolled: 1-line block ×4, first 2 shown]
	v_add_f64 v[48:49], v[38:39], -v[6:7]
	v_add_f64 v[50:51], v[22:23], -v[14:15]
	v_add_f64 v[52:53], v[20:21], -v[12:13]
	v_add_f64 v[54:55], v[36:37], -v[4:5]
	v_add_f64 v[65:66], v[18:19], v[10:11]
	v_add_f64 v[67:68], v[36:37], -v[20:21]
	v_add_f64 v[69:70], v[4:5], -v[12:13]
	v_add_f64 v[71:72], v[38:39], -v[22:23]
	v_add_f64 v[73:74], v[6:7], -v[14:15]
	v_add_f64 v[79:80], v[30:31], v[2:3]
	v_add_f64 v[81:82], v[20:21], -v[36:37]
	v_add_f64 v[83:84], v[12:13], -v[4:5]
	v_add_f64 v[85:86], v[22:23], -v[38:39]
	v_add_f64 v[87:88], v[14:15], -v[6:7]
	v_add_f64 v[97:98], v[16:17], v[8:9]
	v_add_f64 v[99:100], v[28:29], v[0:1]
	v_add_f64 v[89:90], v[26:27], v[30:31]
	;; [unrolled: 1-line block ×3, first 2 shown]
	v_fma_f64 v[42:43], v[42:43], -0.5, v[34:35]
	v_fma_f64 v[44:45], v[44:45], -0.5, v[32:33]
	;; [unrolled: 1-line block ×4, first 2 shown]
	v_add_f64 v[34:35], v[34:35], v[38:39]
	v_add_f64 v[32:33], v[32:33], v[36:37]
	v_add_f64 v[57:58], v[30:31], -v[18:19]
	v_add_f64 v[61:62], v[16:17], -v[8:9]
	;; [unrolled: 1-line block ×7, first 2 shown]
	v_fma_f64 v[36:37], v[65:66], -0.5, v[26:27]
	v_add_f64 v[65:66], v[67:68], v[69:70]
	v_add_f64 v[67:68], v[71:72], v[73:74]
	v_fma_f64 v[26:27], v[79:80], -0.5, v[26:27]
	v_add_f64 v[69:70], v[81:82], v[83:84]
	v_add_f64 v[71:72], v[85:86], v[87:88]
	v_fma_f64 v[83:84], v[97:98], -0.5, v[24:25]
	v_fma_f64 v[24:25], v[99:100], -0.5, v[24:25]
	v_add_f64 v[59:60], v[2:3], -v[10:11]
	v_fma_f64 v[91:92], v[52:53], s[14:15], v[42:43]
	v_fma_f64 v[93:94], v[50:51], s[14:15], v[44:45]
	v_fma_f64 v[95:96], v[48:49], s[4:5], v[46:47]
	v_fma_f64 v[38:39], v[54:55], s[4:5], v[40:41]
	v_fma_f64 v[42:43], v[52:53], s[4:5], v[42:43]
	v_fma_f64 v[44:45], v[50:51], s[4:5], v[44:45]
	v_fma_f64 v[46:47], v[48:49], s[14:15], v[46:47]
	v_fma_f64 v[40:41], v[54:55], s[14:15], v[40:41]
	v_add_f64 v[101:102], v[28:29], -v[16:17]
	v_add_f64 v[28:29], v[16:17], -v[28:29]
	v_add_f64 v[18:19], v[89:90], v[18:19]
	v_add_f64 v[22:23], v[34:35], v[22:23]
	;; [unrolled: 1-line block ×4, first 2 shown]
	v_add_f64 v[103:104], v[0:1], -v[8:9]
	v_fma_f64 v[32:33], v[63:64], s[4:5], v[36:37]
	v_fma_f64 v[34:35], v[61:62], s[14:15], v[26:27]
	;; [unrolled: 1-line block ×4, first 2 shown]
	v_add_f64 v[85:86], v[8:9], -v[0:1]
	v_add_f64 v[57:58], v[57:58], v[59:60]
	v_fma_f64 v[73:74], v[54:55], s[6:7], v[91:92]
	v_fma_f64 v[79:80], v[48:49], s[6:7], v[93:94]
	;; [unrolled: 1-line block ×7, first 2 shown]
	v_add_f64 v[48:49], v[75:76], v[77:78]
	v_fma_f64 v[40:41], v[52:53], s[16:17], v[40:41]
	v_fma_f64 v[75:76], v[30:31], s[4:5], v[83:84]
	;; [unrolled: 1-line block ×3, first 2 shown]
	v_add_f64 v[10:11], v[18:19], v[10:11]
	v_add_f64 v[14:15], v[22:23], v[14:15]
	;; [unrolled: 1-line block ×5, first 2 shown]
	v_fma_f64 v[16:17], v[61:62], s[6:7], v[32:33]
	v_fma_f64 v[18:19], v[63:64], s[6:7], v[34:35]
	;; [unrolled: 1-line block ×4, first 2 shown]
	v_add_f64 v[28:29], v[28:29], v[85:86]
	v_fma_f64 v[50:51], v[71:72], s[8:9], v[73:74]
	v_fma_f64 v[52:53], v[69:70], s[8:9], v[79:80]
	;; [unrolled: 1-line block ×11, first 2 shown]
	v_add_f64 v[10:11], v[10:11], v[2:3]
	v_add_f64 v[6:7], v[14:15], v[6:7]
	;; [unrolled: 1-line block ×4, first 2 shown]
	v_fma_f64 v[12:13], v[57:58], s[8:9], v[16:17]
	v_fma_f64 v[16:17], v[48:49], s[8:9], v[18:19]
	;; [unrolled: 1-line block ×4, first 2 shown]
	v_mul_f64 v[34:35], v[50:51], s[8:9]
	v_mul_f64 v[36:37], v[52:53], s[14:15]
	;; [unrolled: 1-line block ×3, first 2 shown]
	v_fma_f64 v[61:62], v[30:31], s[16:17], v[73:74]
	v_fma_f64 v[24:25], v[30:31], s[6:7], v[24:25]
	;; [unrolled: 1-line block ×3, first 2 shown]
	v_mul_f64 v[54:55], v[54:55], s[18:19]
	v_mul_f64 v[32:33], v[38:39], s[18:19]
	;; [unrolled: 1-line block ×5, first 2 shown]
	v_add_f64 v[2:3], v[10:11], -v[6:7]
	v_add_f64 v[6:7], v[10:11], v[6:7]
	v_add_f64 v[0:1], v[8:9], -v[4:5]
	v_add_f64 v[4:5], v[8:9], v[4:5]
	v_fma_f64 v[34:35], v[44:45], s[14:15], -v[34:35]
	v_fma_f64 v[36:37], v[42:43], s[8:9], v[36:37]
	v_fma_f64 v[40:41], v[26:27], s[18:19], v[40:41]
	;; [unrolled: 1-line block ×6, first 2 shown]
	v_fma_f64 v[32:33], v[46:47], s[16:17], -v[32:33]
	v_fma_f64 v[46:47], v[28:29], s[8:9], v[24:25]
	v_fma_f64 v[52:53], v[52:53], s[8:9], v[63:64]
	v_fma_f64 v[50:51], v[50:51], s[4:5], -v[65:66]
	v_fma_f64 v[59:60], v[38:39], s[6:7], -v[67:68]
	v_add_f64 v[14:15], v[16:17], -v[34:35]
	v_add_f64 v[18:19], v[20:21], -v[36:37]
	v_add_f64 v[30:31], v[16:17], v[34:35]
	v_add_f64 v[34:35], v[20:21], v[36:37]
	;; [unrolled: 1-line block ×3, first 2 shown]
	v_add_f64 v[22:23], v[48:49], -v[40:41]
	v_add_f64 v[36:37], v[57:58], v[54:55]
	v_add_f64 v[10:11], v[12:13], -v[32:33]
	v_add_f64 v[26:27], v[12:13], v[32:33]
	v_add_f64 v[32:33], v[46:47], v[52:53]
	v_add_f64 v[28:29], v[44:45], v[50:51]
	v_add_f64 v[24:25], v[42:43], v[59:60]
	v_add_f64 v[20:21], v[57:58], -v[54:55]
	v_add_f64 v[16:17], v[46:47], -v[52:53]
	;; [unrolled: 1-line block ×4, first 2 shown]
	v_add_nc_u32_e32 v40, 0x2580, v56
	ds_write_b128 v40, v[4:7] offset:19200
	ds_write_b128 v40, v[0:3] offset:19280
	;; [unrolled: 1-line block ×10, first 2 shown]
.LBB0_21:
	s_or_b32 exec_lo, exec_lo, s1
	v_and_b32_e32 v0, 0xff, v160
	v_mov_b32_e32 v8, 5
	v_add_nc_u32_e32 v133, 0xf0, v160
	v_add_nc_u32_e32 v134, 0x12c, v160
	s_waitcnt lgkmcnt(0)
	v_mul_lo_u16 v0, 0xcd, v0
	s_barrier
	buffer_gl0_inv
	v_add_nc_u32_e32 v132, 60, v160
	v_add_nc_u16 v135, v160, 0x78
	v_lshrrev_b16 v137, 11, v0
	s_mov_b32 s6, 0xe8584caa
	s_mov_b32 s7, 0x3febb67a
	;; [unrolled: 1-line block ×3, first 2 shown]
	v_and_b32_e32 v136, 0xff, v135
	v_mul_lo_u16 v0, v137, 10
	s_mov_b32 s4, s6
	v_mov_b32_e32 v161, 4
	v_sub_nc_u16 v138, v160, v0
	v_mov_b32_e32 v0, 0xcccd
	v_mul_u32_u24_sdwa v1, v138, v8 dst_sel:DWORD dst_unused:UNUSED_PAD src0_sel:BYTE_0 src1_sel:DWORD
	v_mul_u32_u24_sdwa v2, v133, v0 dst_sel:DWORD dst_unused:UNUSED_PAD src0_sel:WORD_0 src1_sel:DWORD
	v_mul_u32_u24_sdwa v0, v134, v0 dst_sel:DWORD dst_unused:UNUSED_PAD src0_sel:WORD_0 src1_sel:DWORD
	v_lshlrev_b32_sdwa v138, v161, v138 dst_sel:DWORD dst_unused:UNUSED_PAD src0_sel:DWORD src1_sel:BYTE_0
	v_lshlrev_b32_e32 v1, 4, v1
	v_lshrrev_b32_e32 v141, 19, v2
	v_lshrrev_b32_e32 v143, 19, v0
	s_clause 0x2
	global_load_dwordx4 v[4:7], v1, s[12:13]
	global_load_dwordx4 v[9:12], v1, s[12:13] offset:16
	global_load_dwordx4 v[13:16], v1, s[12:13] offset:32
	v_mul_lo_u16 v2, v141, 10
	v_mul_lo_u16 v0, v143, 10
	s_clause 0x1
	global_load_dwordx4 v[20:23], v1, s[12:13] offset:48
	global_load_dwordx4 v[24:27], v1, s[12:13] offset:64
	v_sub_nc_u16 v142, v133, v2
	v_sub_nc_u16 v144, v134, v0
	v_mul_u32_u24_sdwa v2, v142, v8 dst_sel:DWORD dst_unused:UNUSED_PAD src0_sel:WORD_0 src1_sel:DWORD
	v_mul_u32_u24_sdwa v0, v144, v8 dst_sel:DWORD dst_unused:UNUSED_PAD src0_sel:WORD_0 src1_sel:DWORD
	v_lshlrev_b32_e32 v2, 4, v2
	v_lshlrev_b32_e32 v0, 4, v0
	s_clause 0x5
	global_load_dwordx4 v[28:31], v2, s[12:13]
	global_load_dwordx4 v[32:35], v2, s[12:13] offset:16
	global_load_dwordx4 v[42:45], v2, s[12:13] offset:32
	;; [unrolled: 1-line block ×5, first 2 shown]
	v_and_b32_e32 v1, 0xff, v132
	s_clause 0x3
	global_load_dwordx4 v[70:73], v0, s[12:13]
	global_load_dwordx4 v[74:77], v0, s[12:13] offset:16
	global_load_dwordx4 v[78:81], v0, s[12:13] offset:32
	;; [unrolled: 1-line block ×3, first 2 shown]
	v_mul_lo_u16 v1, 0xcd, v1
	v_lshrrev_b16 v145, 11, v1
	v_mul_lo_u16 v1, v145, 10
	v_sub_nc_u16 v146, v132, v1
	v_mul_u32_u24_sdwa v1, v146, v8 dst_sel:DWORD dst_unused:UNUSED_PAD src0_sel:BYTE_0 src1_sel:DWORD
	v_lshlrev_b32_e32 v0, 4, v1
	v_mul_lo_u16 v1, 0xcd, v136
	s_clause 0x1
	global_load_dwordx4 v[98:101], v0, s[12:13]
	global_load_dwordx4 v[106:109], v0, s[12:13] offset:16
	v_lshrrev_b16 v147, 11, v1
	s_clause 0x2
	global_load_dwordx4 v[110:113], v0, s[12:13] offset:32
	global_load_dwordx4 v[118:121], v0, s[12:13] offset:48
	global_load_dwordx4 v[122:125], v0, s[12:13] offset:64
	v_mul_lo_u16 v1, v147, 10
	v_sub_nc_u16 v148, v135, v1
	v_mul_u32_u24_sdwa v0, v148, v8 dst_sel:DWORD dst_unused:UNUSED_PAD src0_sel:BYTE_0 src1_sel:DWORD
	v_lshlrev_b32_e32 v159, 4, v0
	s_clause 0x1
	global_load_dwordx4 v[126:129], v159, s[12:13]
	global_load_dwordx4 v[151:154], v159, s[12:13] offset:16
	ds_read_b128 v[36:39], v176 offset:5760
	ds_read_b128 v[46:49], v176 offset:11520
	;; [unrolled: 1-line block ×19, first 2 shown]
	s_waitcnt vmcnt(21) lgkmcnt(18)
	v_mul_f64 v[17:18], v[38:39], v[6:7]
	v_mul_f64 v[6:7], v[36:37], v[6:7]
	s_waitcnt vmcnt(20) lgkmcnt(17)
	v_mul_f64 v[40:41], v[48:49], v[11:12]
	v_mul_f64 v[11:12], v[46:47], v[11:12]
	;; [unrolled: 3-line block ×5, first 2 shown]
	v_fma_f64 v[18:19], v[36:37], v[4:5], -v[17:18]
	v_fma_f64 v[16:17], v[38:39], v[4:5], v[6:7]
	s_waitcnt vmcnt(16) lgkmcnt(12)
	v_mul_f64 v[4:5], v[84:85], v[30:31]
	v_mul_f64 v[6:7], v[82:83], v[30:31]
	v_fma_f64 v[38:39], v[46:47], v[9:10], -v[40:41]
	v_fma_f64 v[40:41], v[48:49], v[9:10], v[11:12]
	s_waitcnt vmcnt(15) lgkmcnt(10)
	v_mul_f64 v[9:10], v[116:117], v[34:35]
	v_mul_f64 v[48:49], v[114:115], v[34:35]
	v_fma_f64 v[36:37], v[54:55], v[13:14], -v[90:91]
	s_waitcnt vmcnt(14) lgkmcnt(8)
	v_mul_f64 v[90:91], v[168:169], v[44:45]
	v_mul_f64 v[44:45], v[166:167], v[44:45]
	v_fma_f64 v[34:35], v[56:57], v[13:14], v[96:97]
	s_waitcnt vmcnt(13) lgkmcnt(6)
	v_mul_f64 v[96:97], v[179:180], v[52:53]
	v_fma_f64 v[54:55], v[60:61], v[20:21], v[22:23]
	v_fma_f64 v[60:61], v[66:67], v[24:25], -v[139:140]
	v_fma_f64 v[46:47], v[68:69], v[24:25], v[26:27]
	s_waitcnt vmcnt(12) lgkmcnt(5)
	v_mul_f64 v[26:27], v[183:184], v[64:65]
	v_mul_f64 v[68:69], v[181:182], v[64:65]
	v_fma_f64 v[58:59], v[58:59], v[20:21], -v[130:131]
	v_mul_f64 v[52:53], v[177:178], v[52:53]
	ds_read_b128 v[20:23], v176 offset:33600
	s_waitcnt vmcnt(8)
	v_mul_f64 v[130:131], v[170:171], v[80:81]
	ds_read_b128 v[12:15], v176 offset:31680
	v_add_nc_u16 v139, v160, 0xb4
	v_fma_f64 v[30:31], v[82:83], v[28:29], -v[4:5]
	v_fma_f64 v[24:25], v[84:85], v[28:29], v[6:7]
	ds_read_b128 v[4:7], v176
	v_mul_f64 v[28:29], v[104:105], v[72:73]
	v_mul_f64 v[82:83], v[102:103], v[72:73]
	v_fma_f64 v[66:67], v[114:115], v[32:33], -v[9:10]
	v_fma_f64 v[56:57], v[116:117], v[32:33], v[48:49]
	v_mul_f64 v[9:10], v[157:158], v[76:77]
	v_mul_f64 v[32:33], v[155:156], v[76:77]
	v_fma_f64 v[48:49], v[168:169], v[42:43], v[44:45]
	v_mul_f64 v[44:45], v[172:173], v[80:81]
	ds_read_b128 v[114:117], v176 offset:6720
	v_fma_f64 v[64:65], v[166:167], v[42:43], -v[90:91]
	ds_read_b128 v[166:169], v176 offset:12480
	v_fma_f64 v[80:81], v[177:178], v[50:51], -v[96:97]
	s_waitcnt vmcnt(7) lgkmcnt(9)
	v_mul_f64 v[96:97], v[187:188], v[88:89]
	v_mul_f64 v[88:89], v[185:186], v[88:89]
	v_fma_f64 v[76:77], v[181:182], v[62:63], -v[26:27]
	v_fma_f64 v[68:69], v[183:184], v[62:63], v[68:69]
	s_waitcnt lgkmcnt(4)
	v_mul_f64 v[26:27], v[22:23], v[94:95]
	v_mul_f64 v[62:63], v[20:21], v[94:95]
	v_fma_f64 v[72:73], v[179:180], v[50:51], v[52:53]
	ds_read_b128 v[50:53], v176 offset:18240
	ds_read_b128 v[177:180], v176 offset:24000
	v_and_b32_e32 v140, 0xff, v139
	v_fma_f64 v[42:43], v[102:103], v[70:71], -v[28:29]
	v_fma_f64 v[28:29], v[104:105], v[70:71], v[82:83]
	v_fma_f64 v[82:83], v[155:156], v[74:75], -v[9:10]
	v_fma_f64 v[84:85], v[157:158], v[74:75], v[32:33]
	ds_read_b128 v[155:158], v176 offset:7680
	s_waitcnt vmcnt(6) lgkmcnt(4)
	v_mul_f64 v[9:10], v[116:117], v[100:101]
	v_fma_f64 v[90:91], v[170:171], v[78:79], -v[44:45]
	s_waitcnt vmcnt(5) lgkmcnt(3)
	v_mul_f64 v[44:45], v[168:169], v[108:109]
	v_mul_f64 v[74:75], v[114:115], v[100:101]
	v_fma_f64 v[100:101], v[172:173], v[78:79], v[130:131]
	ds_read_b128 v[170:173], v176 offset:13440
	v_fma_f64 v[102:103], v[185:186], v[86:87], -v[96:97]
	v_fma_f64 v[96:97], v[187:188], v[86:87], v[88:89]
	ds_read_b128 v[86:89], v176 offset:29760
	ds_read_b128 v[181:184], v176 offset:19200
	v_mul_lo_u16 v11, 0xcd, v140
	v_mul_f64 v[78:79], v[166:167], v[108:109]
	s_waitcnt vmcnt(4) lgkmcnt(5)
	v_mul_f64 v[108:109], v[52:53], v[112:113]
	v_fma_f64 v[104:105], v[20:21], v[92:93], -v[26:27]
	v_fma_f64 v[70:71], v[22:23], v[92:93], v[62:63]
	v_mul_f64 v[20:21], v[50:51], v[112:113]
	global_load_dwordx4 v[92:95], v159, s[12:13] offset:32
	s_waitcnt vmcnt(4) lgkmcnt(4)
	v_mul_f64 v[22:23], v[177:178], v[120:121]
	v_lshrrev_b16 v149, 11, v11
	ds_read_b128 v[185:188], v176 offset:24960
	v_add_f64 v[174:175], v[56:57], v[72:73]
	v_fma_f64 v[32:33], v[114:115], v[98:99], -v[9:10]
	v_mul_f64 v[9:10], v[179:180], v[120:121]
	v_fma_f64 v[120:121], v[166:167], v[106:107], -v[44:45]
	v_mul_lo_u16 v11, v149, 10
	v_fma_f64 v[26:27], v[116:117], v[98:99], v[74:75]
	s_waitcnt vmcnt(3) lgkmcnt(2)
	v_mul_f64 v[44:45], v[88:89], v[124:125]
	v_mul_f64 v[62:63], v[86:87], v[124:125]
	v_sub_nc_u16 v150, v139, v11
	v_fma_f64 v[116:117], v[168:169], v[106:107], v[78:79]
	ds_read_b128 v[166:169], v176 offset:30720
	v_fma_f64 v[124:125], v[50:51], v[110:111], -v[108:109]
	v_mul_u32_u24_sdwa v74, v150, v8 dst_sel:DWORD dst_unused:UNUSED_PAD src0_sel:BYTE_0 src1_sel:DWORD
	v_fma_f64 v[112:113], v[52:53], v[110:111], v[20:21]
	global_load_dwordx4 v[50:53], v159, s[12:13] offset:48
	s_waitcnt vmcnt(3)
	v_mul_f64 v[20:21], v[157:158], v[128:129]
	v_mul_f64 v[78:79], v[155:156], v[128:129]
	v_lshlrev_b32_e32 v98, 4, v74
	v_fma_f64 v[110:111], v[179:180], v[118:119], v[22:23]
	v_fma_f64 v[114:115], v[177:178], v[118:119], -v[9:10]
	s_clause 0x1
	global_load_dwordx4 v[8:11], v159, s[12:13] offset:64
	global_load_dwordx4 v[128:131], v98, s[12:13]
	v_mov_b32_e32 v159, 0x3c0
	v_fma_f64 v[106:107], v[86:87], v[122:123], -v[44:45]
	v_fma_f64 v[74:75], v[88:89], v[122:123], v[62:63]
	s_waitcnt vmcnt(4)
	v_mul_f64 v[44:45], v[172:173], v[153:154]
	v_mul_f64 v[62:63], v[170:171], v[153:154]
	v_mul_u32_u24_sdwa v137, v137, v159 dst_sel:DWORD dst_unused:UNUSED_PAD src0_sel:WORD_0 src1_sel:DWORD
	v_add3_u32 v137, 0, v137, v138
	v_mul_u32_u24_sdwa v138, v145, v159 dst_sel:DWORD dst_unused:UNUSED_PAD src0_sel:WORD_0 src1_sel:DWORD
	v_fma_f64 v[20:21], v[155:156], v[126:127], -v[20:21]
	s_clause 0x2
	global_load_dwordx4 v[153:156], v98, s[12:13] offset:16
	global_load_dwordx4 v[177:180], v98, s[12:13] offset:32
	;; [unrolled: 1-line block ×3, first 2 shown]
	v_fma_f64 v[22:23], v[157:158], v[126:127], v[78:79]
	v_lshlrev_b32_sdwa v145, v161, v146 dst_sel:DWORD dst_unused:UNUSED_PAD src0_sel:DWORD src1_sel:BYTE_0
	v_fma_f64 v[118:119], v[170:171], v[151:152], -v[44:45]
	v_fma_f64 v[122:123], v[172:173], v[151:152], v[62:63]
	global_load_dwordx4 v[170:173], v98, s[12:13] offset:64
	s_waitcnt vmcnt(7) lgkmcnt(2)
	v_mul_f64 v[44:45], v[183:184], v[94:95]
	v_mul_f64 v[62:63], v[181:182], v[94:95]
	s_waitcnt vmcnt(6) lgkmcnt(1)
	v_mul_f64 v[78:79], v[187:188], v[52:53]
	v_fma_f64 v[126:127], v[181:182], v[92:93], -v[44:45]
	v_fma_f64 v[44:45], v[183:184], v[92:93], v[62:63]
	v_mul_f64 v[52:53], v[185:186], v[52:53]
	v_add_f64 v[181:182], v[82:83], v[102:103]
	v_add_f64 v[183:184], v[84:85], v[96:97]
	s_waitcnt vmcnt(5) lgkmcnt(0)
	v_mul_f64 v[62:63], v[168:169], v[10:11]
	v_mul_f64 v[10:11], v[166:167], v[10:11]
	s_waitcnt vmcnt(4)
	v_mul_f64 v[92:93], v[191:192], v[130:131]
	v_fma_f64 v[88:89], v[185:186], v[50:51], -v[78:79]
	v_add_f64 v[185:186], v[120:121], v[114:115]
	s_waitcnt vmcnt(3)
	v_mul_f64 v[94:95], v[195:196], v[155:156]
	v_fma_f64 v[78:79], v[187:188], v[50:51], v[52:53]
	v_mul_f64 v[50:51], v[189:190], v[130:131]
	v_mul_f64 v[98:99], v[193:194], v[155:156]
	s_waitcnt vmcnt(2)
	v_mul_f64 v[108:109], v[199:200], v[179:180]
	v_mul_f64 v[151:152], v[197:198], v[179:180]
	s_waitcnt vmcnt(1)
	v_mul_f64 v[155:156], v[203:204], v[207:208]
	v_fma_f64 v[86:87], v[166:167], v[8:9], -v[62:63]
	v_fma_f64 v[62:63], v[168:169], v[8:9], v[10:11]
	v_mul_f64 v[157:158], v[201:202], v[207:208]
	v_fma_f64 v[52:53], v[189:190], v[128:129], -v[92:93]
	v_add_f64 v[130:131], v[40:41], v[54:55]
	v_add_f64 v[187:188], v[116:117], v[110:111]
	ds_read_b128 v[8:11], v176 offset:3840
	s_waitcnt vmcnt(0)
	v_mul_f64 v[166:167], v[14:15], v[172:173]
	v_mul_f64 v[168:169], v[12:13], v[172:173]
	v_add_f64 v[172:173], v[66:67], v[80:81]
	v_fma_f64 v[92:93], v[193:194], v[153:154], -v[94:95]
	v_add_f64 v[189:190], v[122:123], v[78:79]
	v_fma_f64 v[50:51], v[191:192], v[128:129], v[50:51]
	v_add_f64 v[128:129], v[38:39], v[58:59]
	v_fma_f64 v[94:95], v[195:196], v[153:154], v[98:99]
	v_fma_f64 v[98:99], v[197:198], v[177:178], -v[108:109]
	v_fma_f64 v[108:109], v[199:200], v[177:178], v[151:152]
	v_fma_f64 v[177:178], v[201:202], v[205:206], -v[155:156]
	v_add_f64 v[191:192], v[4:5], v[38:39]
	v_fma_f64 v[179:180], v[203:204], v[205:206], v[157:158]
	ds_read_b128 v[151:154], v176 offset:960
	ds_read_b128 v[155:158], v176 offset:1920
	v_add_f64 v[38:39], v[38:39], -v[58:59]
	v_fma_f64 v[166:167], v[12:13], v[170:171], -v[166:167]
	v_fma_f64 v[168:169], v[14:15], v[170:171], v[168:169]
	v_add_f64 v[170:171], v[118:119], v[88:89]
	ds_read_b128 v[12:15], v176 offset:2880
	s_waitcnt lgkmcnt(0)
	s_barrier
	buffer_gl0_inv
	v_fma_f64 v[4:5], v[128:129], -0.5, v[4:5]
	v_fma_f64 v[128:129], v[130:131], -0.5, v[6:7]
	v_add_f64 v[6:7], v[6:7], v[40:41]
	v_add_f64 v[130:131], v[8:9], v[66:67]
	v_fma_f64 v[8:9], v[172:173], -0.5, v[8:9]
	v_fma_f64 v[172:173], v[174:175], -0.5, v[10:11]
	v_add_f64 v[174:175], v[0:1], v[82:83]
	v_fma_f64 v[0:1], v[181:182], -0.5, v[0:1]
	v_fma_f64 v[181:182], v[183:184], -0.5, v[2:3]
	;; [unrolled: 3-line block ×4, first 2 shown]
	v_add_f64 v[189:190], v[18:19], v[36:37]
	v_add_f64 v[40:41], v[40:41], -v[54:55]
	v_add_f64 v[58:59], v[191:192], v[58:59]
	v_add_f64 v[191:192], v[36:37], v[60:61]
	v_add_f64 v[36:37], v[36:37], -v[60:61]
	v_add_f64 v[10:11], v[10:11], v[56:57]
	v_add_f64 v[2:3], v[2:3], v[84:85]
	v_add_f64 v[66:67], v[66:67], -v[80:81]
	v_add_f64 v[56:57], v[56:57], -v[72:73]
	v_add_f64 v[6:7], v[6:7], v[54:55]
	v_add_f64 v[54:55], v[16:17], v[34:35]
	;; [unrolled: 1-line block ×5, first 2 shown]
	v_add_f64 v[82:83], v[82:83], -v[102:103]
	v_add_f64 v[174:175], v[174:175], v[102:103]
	v_add_f64 v[102:103], v[124:125], v[106:107]
	;; [unrolled: 1-line block ×3, first 2 shown]
	v_add_f64 v[84:85], v[84:85], -v[96:97]
	v_add_f64 v[122:123], v[122:123], -v[78:79]
	;; [unrolled: 1-line block ×3, first 2 shown]
	v_add_f64 v[88:89], v[187:188], v[88:89]
	v_add_f64 v[60:61], v[189:190], v[60:61]
	;; [unrolled: 1-line block ×3, first 2 shown]
	v_add_f64 v[34:35], v[34:35], -v[46:47]
	v_fma_f64 v[18:19], v[191:192], -0.5, v[18:19]
	v_add_f64 v[191:192], v[30:31], v[64:65]
	v_add_f64 v[10:11], v[10:11], v[72:73]
	;; [unrolled: 1-line block ×5, first 2 shown]
	v_add_f64 v[96:97], v[120:121], -v[114:115]
	v_add_f64 v[46:47], v[54:55], v[46:47]
	v_add_f64 v[54:55], v[64:65], v[76:77]
	v_add_f64 v[64:65], v[64:65], -v[76:77]
	v_fma_f64 v[130:131], v[130:131], -0.5, v[24:25]
	v_add_f64 v[120:121], v[20:21], v[126:127]
	v_add_f64 v[114:115], v[183:184], v[114:115]
	;; [unrolled: 1-line block ×3, first 2 shown]
	v_fma_f64 v[102:103], v[102:103], -0.5, v[32:33]
	v_add_f64 v[78:79], v[157:158], v[78:79]
	v_add_f64 v[157:158], v[50:51], v[108:109]
	v_fma_f64 v[187:188], v[66:67], s[4:5], v[172:173]
	v_fma_f64 v[172:173], v[66:67], s[6:7], v[172:173]
	;; [unrolled: 1-line block ×3, first 2 shown]
	v_fma_f64 v[16:17], v[189:190], -0.5, v[16:17]
	v_add_f64 v[189:190], v[24:25], v[48:49]
	v_add_f64 v[48:49], v[48:49], -v[68:69]
	v_add_f64 v[76:77], v[191:192], v[76:77]
	v_add_f64 v[191:192], v[90:91], v[104:105]
	;; [unrolled: 1-line block ×5, first 2 shown]
	v_add_f64 v[90:91], v[90:91], -v[104:105]
	v_add_f64 v[104:105], v[116:117], -v[110:111]
	v_fma_f64 v[30:31], v[54:55], -0.5, v[30:31]
	v_add_f64 v[54:55], v[28:29], v[100:101]
	v_add_f64 v[110:111], v[153:154], v[110:111]
	;; [unrolled: 1-line block ×5, first 2 shown]
	v_add_f64 v[116:117], v[124:125], -v[106:107]
	v_add_f64 v[124:125], v[44:45], v[62:63]
	v_fma_f64 v[199:200], v[82:83], s[4:5], v[181:182]
	v_fma_f64 v[181:182], v[82:83], s[6:7], v[181:182]
	v_add_f64 v[157:158], v[157:158], v[168:169]
	v_add_f64 v[68:69], v[189:190], v[68:69]
	v_add_f64 v[189:190], v[100:101], v[70:71]
	v_add_f64 v[100:101], v[100:101], -v[70:71]
	v_fma_f64 v[42:43], v[191:192], -0.5, v[42:43]
	v_add_f64 v[106:107], v[24:25], v[106:107]
	v_add_f64 v[24:25], v[92:93], v[177:178]
	v_fma_f64 v[72:73], v[72:73], -0.5, v[26:27]
	v_add_f64 v[26:27], v[52:53], v[98:99]
	v_fma_f64 v[52:53], v[183:184], -0.5, v[52:53]
	v_fma_f64 v[183:184], v[36:37], s[4:5], v[16:17]
	v_add_f64 v[191:192], v[54:55], v[70:71]
	v_add_f64 v[70:71], v[112:113], -v[74:75]
	v_add_f64 v[74:75], v[94:95], v[179:180]
	v_add_f64 v[54:55], v[126:127], v[86:87]
	v_add_f64 v[126:127], v[126:127], -v[86:87]
	v_add_f64 v[86:87], v[120:121], v[86:87]
	v_add_f64 v[120:121], v[108:109], v[168:169]
	v_add_f64 v[92:93], v[92:93], -v[177:178]
	v_add_f64 v[94:95], v[94:95], -v[179:180]
	v_add_f64 v[153:154], v[153:154], v[177:178]
	v_add_f64 v[177:178], v[32:33], v[179:180]
	v_fma_f64 v[179:180], v[34:35], s[6:7], v[18:19]
	v_fma_f64 v[18:19], v[34:35], s[4:5], v[18:19]
	v_fma_f64 v[112:113], v[189:190], -0.5, v[28:29]
	v_add_f64 v[28:29], v[22:23], v[44:45]
	v_add_f64 v[44:45], v[44:45], -v[62:63]
	v_fma_f64 v[16:17], v[36:37], s[6:7], v[16:17]
	v_add_f64 v[108:109], v[108:109], -v[168:169]
	v_fma_f64 v[12:13], v[24:25], -0.5, v[12:13]
	v_fma_f64 v[189:190], v[64:65], s[4:5], v[130:131]
	v_fma_f64 v[124:125], v[124:125], -0.5, v[22:23]
	v_fma_f64 v[66:67], v[48:49], s[4:5], v[30:31]
	v_fma_f64 v[64:65], v[64:65], s[6:7], v[130:131]
	v_add_f64 v[32:33], v[80:81], -v[76:77]
	v_fma_f64 v[14:15], v[74:75], -0.5, v[14:15]
	v_fma_f64 v[54:55], v[54:55], -0.5, v[20:21]
	v_add_f64 v[74:75], v[26:27], v[166:167]
	v_add_f64 v[98:99], v[98:99], -v[166:167]
	v_fma_f64 v[120:121], v[120:121], -0.5, v[50:51]
	v_add_f64 v[22:23], v[6:7], v[46:47]
	v_add_f64 v[26:27], v[6:7], -v[46:47]
	v_add_f64 v[20:21], v[58:59], v[60:61]
	v_add_f64 v[24:25], v[58:59], -v[60:61]
	v_fma_f64 v[60:61], v[48:49], s[6:7], v[30:31]
	v_add_f64 v[30:31], v[10:11], v[68:69]
	v_add_f64 v[34:35], v[10:11], -v[68:69]
	v_add_f64 v[62:63], v[28:29], v[62:63]
	v_add_f64 v[28:29], v[80:81], v[76:77]
	v_fma_f64 v[76:77], v[90:91], s[4:5], v[112:113]
	v_fma_f64 v[80:81], v[90:91], s[6:7], v[112:113]
	;; [unrolled: 1-line block ×11, first 2 shown]
	v_mul_f64 v[92:93], v[16:17], -0.5
	v_fma_f64 v[168:169], v[38:39], s[4:5], v[128:129]
	v_fma_f64 v[128:129], v[38:39], s[6:7], v[128:129]
	;; [unrolled: 1-line block ×6, first 2 shown]
	v_add_f64 v[38:39], v[110:111], v[2:3]
	v_add_f64 v[42:43], v[110:111], -v[2:3]
	v_add_f64 v[46:47], v[78:79], v[62:63]
	v_add_f64 v[50:51], v[78:79], -v[62:63]
	v_mul_f64 v[62:63], v[183:184], s[6:7]
	v_mul_f64 v[78:79], v[18:19], -0.5
	v_fma_f64 v[2:3], v[122:123], s[6:7], v[155:156]
	v_fma_f64 v[122:123], v[122:123], s[4:5], v[155:156]
	;; [unrolled: 1-line block ×6, first 2 shown]
	v_add_f64 v[44:45], v[88:89], v[86:87]
	v_add_f64 v[48:49], v[88:89], -v[86:87]
	v_fma_f64 v[170:171], v[94:95], s[6:7], v[12:13]
	v_fma_f64 v[12:13], v[94:95], s[4:5], v[12:13]
	;; [unrolled: 1-line block ×4, first 2 shown]
	v_mul_f64 v[108:109], v[189:190], s[6:7]
	v_fma_f64 v[6:7], v[56:57], s[6:7], v[8:9]
	v_fma_f64 v[8:9], v[56:57], s[4:5], v[8:9]
	;; [unrolled: 1-line block ×3, first 2 shown]
	v_add_f64 v[52:53], v[153:154], v[74:75]
	v_mul_f64 v[110:111], v[66:67], -0.5
	v_add_f64 v[56:57], v[153:154], -v[74:75]
	v_mul_f64 v[74:75], v[64:65], -0.5
	v_fma_f64 v[166:167], v[40:41], s[6:7], v[4:5]
	v_fma_f64 v[4:5], v[40:41], s[4:5], v[4:5]
	v_add_f64 v[36:37], v[114:115], v[106:107]
	v_add_f64 v[40:41], v[114:115], -v[106:107]
	v_fma_f64 v[106:107], v[126:127], s[6:7], v[124:125]
	v_mul_f64 v[116:117], v[76:77], s[6:7]
	v_fma_f64 v[118:119], v[98:99], s[4:5], v[120:121]
	v_fma_f64 v[126:127], v[179:180], 0.5, v[62:63]
	v_mul_f64 v[62:63], v[80:81], -0.5
	v_mul_f64 v[114:115], v[60:61], s[4:5]
	v_fma_f64 v[98:99], v[98:99], s[6:7], v[120:121]
	v_mul_f64 v[120:121], v[0:1], s[4:5]
	v_mul_f64 v[86:87], v[179:180], s[4:5]
	v_mul_f64 v[124:125], v[68:69], -0.5
	v_fma_f64 v[16:17], v[16:17], s[6:7], v[78:79]
	v_mul_f64 v[78:79], v[84:85], s[6:7]
	v_fma_f64 v[18:19], v[18:19], s[4:5], v[92:93]
	v_mul_f64 v[92:93], v[82:83], s[4:5]
	v_mul_f64 v[153:154], v[70:71], -0.5
	v_fma_f64 v[108:109], v[60:61], 0.5, v[108:109]
	v_mul_f64 v[60:61], v[72:73], -0.5
	v_add_f64 v[54:55], v[177:178], v[157:158]
	v_add_f64 v[58:59], v[177:178], -v[157:158]
	v_fma_f64 v[110:111], v[64:65], s[6:7], v[110:111]
	v_mul_f64 v[64:65], v[102:103], s[6:7]
	v_fma_f64 v[177:178], v[66:67], s[4:5], v[74:75]
	v_mul_f64 v[66:67], v[96:97], s[4:5]
	v_mul_f64 v[157:158], v[100:101], -0.5
	v_fma_f64 v[179:180], v[0:1], 0.5, v[116:117]
	v_mul_f64 v[0:1], v[106:107], -0.5
	v_mul_f64 v[74:75], v[118:119], s[6:7]
	v_fma_f64 v[201:202], v[68:69], s[4:5], v[62:63]
	v_mul_f64 v[62:63], v[88:89], s[4:5]
	v_fma_f64 v[114:115], v[189:190], 0.5, v[114:115]
	v_fma_f64 v[189:190], v[76:77], 0.5, v[120:121]
	v_mul_f64 v[76:77], v[94:95], -0.5
	v_mul_f64 v[68:69], v[98:99], -0.5
	v_fma_f64 v[86:87], v[183:184], 0.5, v[86:87]
	v_fma_f64 v[183:184], v[80:81], s[6:7], v[124:125]
	v_fma_f64 v[116:117], v[82:83], 0.5, v[78:79]
	v_fma_f64 v[124:125], v[84:85], 0.5, v[92:93]
	v_fma_f64 v[120:121], v[72:73], s[6:7], v[153:154]
	v_fma_f64 v[153:154], v[70:71], s[4:5], v[60:61]
	v_add_f64 v[60:61], v[166:167], v[126:127]
	v_add_f64 v[72:73], v[4:5], -v[16:17]
	v_add_f64 v[80:81], v[8:9], v[110:111]
	v_fma_f64 v[203:204], v[96:97], 0.5, v[64:65]
	v_add_f64 v[64:65], v[4:5], v[16:17]
	v_fma_f64 v[205:206], v[102:103], 0.5, v[66:67]
	v_fma_f64 v[157:158], v[106:107], s[6:7], v[157:158]
	v_add_f64 v[66:67], v[128:129], v[18:19]
	v_fma_f64 v[0:1], v[100:101], s[4:5], v[0:1]
	v_fma_f64 v[207:208], v[88:89], 0.5, v[74:75]
	v_add_f64 v[74:75], v[128:129], -v[18:19]
	v_fma_f64 v[211:212], v[118:119], 0.5, v[62:63]
	v_add_f64 v[84:85], v[6:7], -v[108:109]
	v_add_f64 v[88:89], v[8:9], -v[110:111]
	v_fma_f64 v[209:210], v[98:99], s[6:7], v[76:77]
	v_fma_f64 v[213:214], v[94:95], s[4:5], v[68:69]
	v_add_f64 v[62:63], v[168:169], v[86:87]
	v_add_f64 v[68:69], v[166:167], -v[126:127]
	v_add_f64 v[70:71], v[168:169], -v[86:87]
	;; [unrolled: 1-line block ×4, first 2 shown]
	v_add_f64 v[92:93], v[90:91], v[116:117]
	v_add_f64 v[96:97], v[104:105], v[120:121]
	;; [unrolled: 1-line block ×3, first 2 shown]
	v_add_f64 v[104:105], v[104:105], -v[120:121]
	v_add_f64 v[106:107], v[130:131], -v[153:154]
	v_add_f64 v[98:99], v[130:131], v[153:154]
	v_add_f64 v[116:117], v[2:3], -v[203:204]
	v_add_f64 v[118:119], v[151:152], -v[205:206]
	v_add_f64 v[76:77], v[6:7], v[108:109]
	v_add_f64 v[108:109], v[2:3], v[203:204]
	;; [unrolled: 1-line block ×4, first 2 shown]
	v_add_f64 v[120:121], v[122:123], -v[157:158]
	v_add_f64 v[122:123], v[155:156], -v[0:1]
	v_add_f64 v[78:79], v[187:188], v[114:115]
	v_add_f64 v[86:87], v[187:188], -v[114:115]
	v_add_f64 v[114:115], v[155:156], v[0:1]
	v_add_f64 v[151:152], v[170:171], -v[207:208]
	v_add_f64 v[153:154], v[185:186], -v[211:212]
	v_add_f64 v[82:83], v[172:173], v[177:178]
	v_add_f64 v[124:125], v[170:171], v[207:208]
	;; [unrolled: 1-line block ×3, first 2 shown]
	v_add_f64 v[155:156], v[12:13], -v[209:210]
	v_add_f64 v[157:158], v[14:15], -v[213:214]
	v_add_f64 v[128:129], v[12:13], v[209:210]
	v_add_f64 v[130:131], v[14:15], v[213:214]
	ds_write_b128 v137, v[20:23]
	ds_write_b128 v137, v[60:63] offset:160
	ds_write_b128 v137, v[64:67] offset:320
	;; [unrolled: 1-line block ×3, first 2 shown]
	v_add3_u32 v20, 0, v138, v145
	v_mul_u32_u24_sdwa v21, v147, v159 dst_sel:DWORD dst_unused:UNUSED_PAD src0_sel:WORD_0 src1_sel:DWORD
	v_lshlrev_b32_sdwa v22, v161, v148 dst_sel:DWORD dst_unused:UNUSED_PAD src0_sel:DWORD src1_sel:BYTE_0
	v_add_f64 v[90:91], v[172:173], -v[177:178]
	v_add_f64 v[166:167], v[174:175], v[195:196]
	v_add_f64 v[168:169], v[193:194], v[191:192]
	ds_write_b128 v137, v[68:71] offset:640
	ds_write_b128 v137, v[72:75] offset:800
	ds_write_b128 v20, v[36:39]
	ds_write_b128 v20, v[92:95] offset:160
	ds_write_b128 v20, v[96:99] offset:320
	;; [unrolled: 1-line block ×3, first 2 shown]
	v_add3_u32 v21, 0, v21, v22
	ds_write_b128 v20, v[100:103] offset:640
	ds_write_b128 v20, v[104:107] offset:800
	v_mul_u32_u24_sdwa v20, v149, v159 dst_sel:DWORD dst_unused:UNUSED_PAD src0_sel:WORD_0 src1_sel:DWORD
	v_lshlrev_b32_sdwa v22, v161, v150 dst_sel:DWORD dst_unused:UNUSED_PAD src0_sel:DWORD src1_sel:BYTE_0
	v_add_f64 v[4:5], v[10:11], v[179:180]
	v_add_f64 v[6:7], v[199:200], v[189:190]
	v_add_f64 v[12:13], v[10:11], -v[179:180]
	v_add_f64 v[8:9], v[197:198], -v[183:184]
	;; [unrolled: 1-line block ×3, first 2 shown]
	v_add_f64 v[0:1], v[197:198], v[183:184]
	v_add_f64 v[2:3], v[181:182], v[201:202]
	ds_write_b128 v21, v[44:47]
	ds_write_b128 v21, v[108:111] offset:160
	ds_write_b128 v21, v[112:115] offset:320
	;; [unrolled: 1-line block ×3, first 2 shown]
	v_add3_u32 v20, 0, v20, v22
	ds_write_b128 v21, v[116:119] offset:640
	ds_write_b128 v21, v[120:123] offset:800
	v_mul_u32_u24_e32 v21, 0x3c0, v141
	v_lshlrev_b32_sdwa v22, v161, v142 dst_sel:DWORD dst_unused:UNUSED_PAD src0_sel:DWORD src1_sel:WORD_0
	v_add_f64 v[16:17], v[174:175], -v[195:196]
	v_add_f64 v[18:19], v[193:194], -v[191:192]
	;; [unrolled: 1-line block ×3, first 2 shown]
	v_lshlrev_b32_sdwa v23, v161, v144 dst_sel:DWORD dst_unused:UNUSED_PAD src0_sel:DWORD src1_sel:WORD_0
	v_add3_u32 v21, 0, v21, v22
	v_mul_u32_u24_e32 v22, 0x3c0, v143
	ds_write_b128 v20, v[52:55]
	ds_write_b128 v20, v[124:127] offset:160
	ds_write_b128 v20, v[128:131] offset:320
	;; [unrolled: 1-line block ×5, first 2 shown]
	ds_write_b128 v21, v[28:31]
	ds_write_b128 v21, v[76:79] offset:160
	v_mul_lo_u16 v24, 0x89, v140
	v_mov_b32_e32 v60, 0x8889
	v_add3_u32 v20, 0, v22, v23
	ds_write_b128 v21, v[80:83] offset:320
	ds_write_b128 v21, v[32:35] offset:480
	;; [unrolled: 1-line block ×4, first 2 shown]
	ds_write_b128 v20, v[166:169]
	v_mul_u32_u24_e32 v21, 5, v160
	ds_write_b128 v20, v[4:7] offset:160
	ds_write_b128 v20, v[0:3] offset:320
	;; [unrolled: 1-line block ×4, first 2 shown]
	v_lshlrev_b32_e32 v121, 4, v21
	ds_write_b128 v20, v[8:11] offset:800
	s_waitcnt lgkmcnt(0)
	s_barrier
	buffer_gl0_inv
	s_clause 0x3
	global_load_dwordx4 v[0:3], v121, s[12:13] offset:800
	global_load_dwordx4 v[16:19], v121, s[12:13] offset:816
	;; [unrolled: 1-line block ×4, first 2 shown]
	v_mul_lo_u16 v4, 0x89, v136
	v_lshrrev_b16 v33, 13, v24
	v_lshrrev_b16 v4, 13, v4
	v_mul_lo_u16 v33, v33, 60
	v_mul_lo_u16 v4, v4, 60
	v_sub_nc_u16 v33, v139, v33
	v_sub_nc_u16 v20, v135, v4
	global_load_dwordx4 v[4:7], v121, s[12:13] offset:864
	v_and_b32_e32 v123, 0xff, v33
	v_mul_u32_u24_sdwa v33, v133, v60 dst_sel:DWORD dst_unused:UNUSED_PAD src0_sel:WORD_0 src1_sel:DWORD
	v_mul_u32_u24_sdwa v60, v134, v60 dst_sel:DWORD dst_unused:UNUSED_PAD src0_sel:WORD_0 src1_sel:DWORD
	v_and_b32_e32 v120, 0xff, v20
	v_lshrrev_b32_e32 v33, 21, v33
	v_lshrrev_b32_e32 v60, 21, v60
	v_mul_u32_u24_e32 v20, 5, v120
	v_mul_lo_u16 v33, v33, 60
	v_mul_lo_u16 v60, v60, 60
	v_lshlrev_b32_e32 v32, 4, v20
	v_sub_nc_u16 v33, v133, v33
	v_sub_nc_u16 v60, v134, v60
	s_clause 0x4
	global_load_dwordx4 v[44:47], v32, s[12:13] offset:864
	global_load_dwordx4 v[28:31], v32, s[12:13] offset:800
	;; [unrolled: 1-line block ×5, first 2 shown]
	v_mul_u32_u24_e32 v32, 5, v123
	v_and_b32_e32 v122, 0xffff, v33
	v_and_b32_e32 v124, 0xffff, v60
	v_lshlrev_b32_e32 v32, 4, v32
	s_clause 0x3
	global_load_dwordx4 v[56:59], v32, s[12:13] offset:800
	global_load_dwordx4 v[48:51], v32, s[12:13] offset:816
	global_load_dwordx4 v[40:43], v32, s[12:13] offset:832
	global_load_dwordx4 v[36:39], v32, s[12:13] offset:848
	v_mul_u32_u24_e32 v61, 5, v122
	global_load_dwordx4 v[32:35], v32, s[12:13] offset:864
	v_mul_u32_u24_e32 v60, 5, v124
	v_lshlrev_b32_e32 v61, 4, v61
	v_lshlrev_b32_e32 v96, 4, v60
	s_clause 0x9
	global_load_dwordx4 v[84:87], v61, s[12:13] offset:800
	global_load_dwordx4 v[80:83], v61, s[12:13] offset:816
	global_load_dwordx4 v[68:71], v61, s[12:13] offset:832
	global_load_dwordx4 v[64:67], v61, s[12:13] offset:848
	global_load_dwordx4 v[60:63], v61, s[12:13] offset:864
	global_load_dwordx4 v[92:95], v96, s[12:13] offset:800
	global_load_dwordx4 v[88:91], v96, s[12:13] offset:816
	global_load_dwordx4 v[76:79], v96, s[12:13] offset:832
	global_load_dwordx4 v[72:75], v96, s[12:13] offset:848
	global_load_dwordx4 v[96:99], v96, s[12:13] offset:864
	ds_read_b128 v[116:119], v176 offset:5760
	ds_read_b128 v[112:115], v176 offset:6720
	ds_read_b128 v[108:111], v176 offset:11520
	ds_read_b128 v[104:107], v176 offset:12480
	ds_read_b128 v[100:103], v176 offset:17280
	ds_read_b128 v[125:128], v176 offset:4800
	ds_read_b128 v[133:136], v176 offset:7680
	ds_read_b128 v[137:140], v176 offset:18240
	ds_read_b128 v[141:144], v176 offset:10560
	ds_read_b128 v[145:148], v176 offset:23040
	ds_read_b128 v[149:152], v176 offset:13440
	ds_read_b128 v[153:156], v176 offset:24000
	ds_read_b128 v[166:169], v176 offset:16320
	ds_read_b128 v[170:173], v176 offset:29760
	s_waitcnt vmcnt(24) lgkmcnt(13)
	v_mul_f64 v[129:130], v[118:119], v[2:3]
	s_waitcnt vmcnt(23) lgkmcnt(11)
	v_mul_f64 v[177:178], v[110:111], v[18:19]
	v_mul_f64 v[179:180], v[108:109], v[18:19]
	s_waitcnt lgkmcnt(10)
	v_mul_f64 v[181:182], v[106:107], v[18:19]
	v_mul_f64 v[18:19], v[104:105], v[18:19]
	;; [unrolled: 1-line block ×5, first 2 shown]
	s_waitcnt vmcnt(22) lgkmcnt(9)
	v_mul_f64 v[183:184], v[102:103], v[14:15]
	v_mul_f64 v[185:186], v[100:101], v[14:15]
	s_waitcnt lgkmcnt(6)
	v_mul_f64 v[189:190], v[139:140], v[14:15]
	s_waitcnt vmcnt(21) lgkmcnt(2)
	v_mul_f64 v[191:192], v[153:154], v[10:11]
	v_fma_f64 v[129:130], v[116:117], v[0:1], -v[129:130]
	v_fma_f64 v[108:109], v[108:109], v[16:17], -v[177:178]
	v_fma_f64 v[110:111], v[110:111], v[16:17], v[179:180]
	v_mul_f64 v[179:180], v[147:148], v[10:11]
	v_fma_f64 v[104:105], v[104:105], v[16:17], -v[181:182]
	v_fma_f64 v[106:107], v[106:107], v[16:17], v[18:19]
	v_mul_f64 v[18:19], v[145:146], v[10:11]
	v_mul_f64 v[181:182], v[155:156], v[10:11]
	v_fma_f64 v[157:158], v[118:119], v[0:1], v[157:158]
	ds_read_b128 v[116:119], v176 offset:19200
	v_fma_f64 v[174:175], v[112:113], v[0:1], -v[174:175]
	v_fma_f64 v[187:188], v[114:115], v[0:1], v[2:3]
	ds_read_b128 v[0:3], v176 offset:24960
	ds_read_b128 v[112:115], v176 offset:22080
	v_mul_f64 v[177:178], v[137:138], v[14:15]
	ds_read_b128 v[14:17], v176 offset:28800
	v_fma_f64 v[183:184], v[100:101], v[12:13], -v[183:184]
	v_fma_f64 v[185:186], v[102:103], v[12:13], v[185:186]
	ds_read_b128 v[100:103], v176 offset:30720
	v_fma_f64 v[137:138], v[137:138], v[12:13], -v[189:190]
	v_fma_f64 v[145:146], v[145:146], v[8:9], -v[179:180]
	s_waitcnt vmcnt(17)
	v_mul_f64 v[179:180], v[151:152], v[22:23]
	v_mul_f64 v[22:23], v[149:150], v[22:23]
	v_fma_f64 v[147:148], v[147:148], v[8:9], v[18:19]
	v_fma_f64 v[153:154], v[153:154], v[8:9], -v[181:182]
	v_fma_f64 v[8:9], v[155:156], v[8:9], v[191:192]
	v_mul_f64 v[155:156], v[135:136], v[30:31]
	v_mul_f64 v[30:31], v[133:134], v[30:31]
	s_waitcnt lgkmcnt(5)
	v_mul_f64 v[18:19], v[172:173], v[6:7]
	s_waitcnt lgkmcnt(1)
	v_mul_f64 v[189:190], v[14:15], v[6:7]
	v_fma_f64 v[139:140], v[139:140], v[12:13], v[177:178]
	v_mul_f64 v[177:178], v[16:17], v[6:7]
	v_mul_f64 v[6:7], v[170:171], v[6:7]
	s_waitcnt vmcnt(15)
	v_mul_f64 v[191:192], v[2:3], v[54:55]
	ds_read_b128 v[10:13], v176 offset:27840
	v_fma_f64 v[133:134], v[133:134], v[28:29], -v[155:156]
	v_fma_f64 v[30:31], v[135:136], v[28:29], v[30:31]
	v_mul_f64 v[28:29], v[0:1], v[54:55]
	v_fma_f64 v[181:182], v[16:17], v[4:5], v[189:190]
	v_mul_f64 v[189:190], v[118:119], v[26:27]
	v_mul_f64 v[26:27], v[116:117], v[26:27]
	v_fma_f64 v[177:178], v[14:15], v[4:5], -v[177:178]
	v_fma_f64 v[170:171], v[170:171], v[4:5], -v[18:19]
	v_fma_f64 v[172:173], v[172:173], v[4:5], v[6:7]
	ds_read_b128 v[4:7], v176 offset:8640
	ds_read_b128 v[14:17], v176 offset:14400
	s_waitcnt lgkmcnt(3)
	v_mul_f64 v[54:55], v[102:103], v[46:47]
	v_mul_f64 v[46:47], v[100:101], v[46:47]
	v_fma_f64 v[135:136], v[149:150], v[20:21], -v[179:180]
	v_fma_f64 v[149:150], v[151:152], v[20:21], v[22:23]
	ds_read_b128 v[18:21], v176 offset:20160
	v_fma_f64 v[155:156], v[0:1], v[52:53], -v[191:192]
	v_fma_f64 v[52:53], v[2:3], v[52:53], v[28:29]
	ds_read_b128 v[0:3], v176 offset:15360
	;; [unrolled: 3-line block ×3, first 2 shown]
	s_waitcnt vmcnt(14) lgkmcnt(4)
	v_mul_f64 v[151:152], v[6:7], v[58:59]
	v_mul_f64 v[58:59], v[4:5], v[58:59]
	s_waitcnt vmcnt(13) lgkmcnt(3)
	v_mul_f64 v[179:180], v[16:17], v[50:51]
	v_mul_f64 v[50:51], v[14:15], v[50:51]
	v_fma_f64 v[54:55], v[100:101], v[44:45], -v[54:55]
	v_fma_f64 v[100:101], v[102:103], v[44:45], v[46:47]
	ds_read_b128 v[26:29], v176 offset:25920
	ds_read_b128 v[44:47], v176 offset:21120
	s_waitcnt vmcnt(12) lgkmcnt(4)
	v_mul_f64 v[102:103], v[20:21], v[42:43]
	v_mul_f64 v[42:43], v[18:19], v[42:43]
	v_add_f64 v[189:190], v[137:138], v[170:171]
	v_add_f64 v[191:192], v[139:140], -v[172:173]
	v_fma_f64 v[151:152], v[4:5], v[56:57], -v[151:152]
	v_fma_f64 v[56:57], v[6:7], v[56:57], v[58:59]
	ds_read_b128 v[4:7], v176 offset:31680
	v_fma_f64 v[58:59], v[14:15], v[48:49], -v[179:180]
	v_fma_f64 v[48:49], v[16:17], v[48:49], v[50:51]
	ds_read_b128 v[14:17], v176 offset:26880
	s_waitcnt vmcnt(11) lgkmcnt(3)
	v_mul_f64 v[50:51], v[28:29], v[38:39]
	v_mul_f64 v[38:39], v[26:27], v[38:39]
	v_fma_f64 v[102:103], v[18:19], v[40:41], -v[102:103]
	v_fma_f64 v[40:41], v[20:21], v[40:41], v[42:43]
	s_waitcnt vmcnt(9)
	v_mul_f64 v[179:180], v[24:25], v[86:87]
	ds_read_b128 v[18:21], v176 offset:32640
	v_add_f64 v[193:194], v[118:119], -v[100:101]
	s_waitcnt lgkmcnt(2)
	v_mul_f64 v[42:43], v[6:7], v[34:35]
	v_mul_f64 v[34:35], v[4:5], v[34:35]
	v_fma_f64 v[50:51], v[26:27], v[36:37], -v[50:51]
	v_mul_f64 v[26:27], v[22:23], v[86:87]
	v_fma_f64 v[36:37], v[28:29], v[36:37], v[38:39]
	s_waitcnt vmcnt(8)
	v_mul_f64 v[28:29], v[2:3], v[82:83]
	v_mul_f64 v[38:39], v[0:1], v[82:83]
	s_waitcnt vmcnt(7)
	v_mul_f64 v[82:83], v[46:47], v[70:71]
	v_fma_f64 v[86:87], v[22:23], v[84:85], -v[179:180]
	v_fma_f64 v[42:43], v[4:5], v[32:33], -v[42:43]
	v_fma_f64 v[32:33], v[6:7], v[32:33], v[34:35]
	v_mul_f64 v[34:35], v[44:45], v[70:71]
	s_waitcnt vmcnt(6) lgkmcnt(1)
	v_mul_f64 v[70:71], v[16:17], v[66:67]
	v_mul_f64 v[66:67], v[14:15], v[66:67]
	v_fma_f64 v[84:85], v[24:25], v[84:85], v[26:27]
	ds_read_b128 v[4:7], v176 offset:33600
	ds_read_b128 v[22:25], v176
	s_waitcnt vmcnt(5) lgkmcnt(2)
	v_mul_f64 v[26:27], v[20:21], v[62:63]
	v_fma_f64 v[179:180], v[0:1], v[80:81], -v[28:29]
	v_fma_f64 v[38:39], v[2:3], v[80:81], v[38:39]
	v_mul_f64 v[0:1], v[18:19], v[62:63]
	s_waitcnt vmcnt(4)
	v_mul_f64 v[28:29], v[143:144], v[94:95]
	v_mul_f64 v[62:63], v[141:142], v[94:95]
	s_waitcnt vmcnt(3)
	v_mul_f64 v[80:81], v[168:169], v[90:91]
	v_fma_f64 v[44:45], v[44:45], v[68:69], -v[82:83]
	v_fma_f64 v[82:83], v[46:47], v[68:69], v[34:35]
	v_mul_f64 v[34:35], v[166:167], v[90:91]
	s_waitcnt vmcnt(2)
	v_mul_f64 v[46:47], v[114:115], v[78:79]
	v_mul_f64 v[68:69], v[112:113], v[78:79]
	s_waitcnt vmcnt(1)
	v_mul_f64 v[78:79], v[12:13], v[74:75]
	v_fma_f64 v[70:71], v[14:15], v[64:65], -v[70:71]
	v_fma_f64 v[90:91], v[16:17], v[64:65], v[66:67]
	v_mul_f64 v[64:65], v[10:11], v[74:75]
	s_waitcnt vmcnt(0) lgkmcnt(1)
	v_mul_f64 v[66:67], v[6:7], v[98:99]
	v_mul_f64 v[74:75], v[4:5], v[98:99]
	v_fma_f64 v[98:99], v[20:21], v[60:61], v[0:1]
	v_fma_f64 v[141:142], v[141:142], v[92:93], -v[28:29]
	v_fma_f64 v[92:93], v[143:144], v[92:93], v[62:63]
	v_fma_f64 v[80:81], v[166:167], v[88:89], -v[80:81]
	v_add_f64 v[62:63], v[106:107], v[8:9]
	ds_read_b128 v[0:3], v176 offset:960
	ds_read_b128 v[14:17], v176 offset:1920
	v_fma_f64 v[94:95], v[18:19], v[60:61], -v[26:27]
	v_add_f64 v[60:61], v[104:105], v[153:154]
	ds_read_b128 v[18:21], v176 offset:2880
	ds_read_b128 v[26:29], v176 offset:3840
	s_waitcnt lgkmcnt(0)
	s_barrier
	buffer_gl0_inv
	v_fma_f64 v[88:89], v[168:169], v[88:89], v[34:35]
	v_fma_f64 v[112:113], v[112:113], v[76:77], -v[46:47]
	v_fma_f64 v[114:115], v[114:115], v[76:77], v[68:69]
	v_fma_f64 v[143:144], v[10:11], v[72:73], -v[78:79]
	v_add_f64 v[10:11], v[22:23], v[108:109]
	v_add_f64 v[34:35], v[24:25], v[110:111]
	v_fma_f64 v[166:167], v[12:13], v[72:73], v[64:65]
	v_fma_f64 v[168:169], v[4:5], v[96:97], -v[66:67]
	v_fma_f64 v[96:97], v[6:7], v[96:97], v[74:75]
	v_add_f64 v[4:5], v[108:109], v[145:146]
	v_add_f64 v[6:7], v[110:111], v[147:148]
	v_add_f64 v[12:13], v[110:111], -v[147:148]
	v_add_f64 v[46:47], v[108:109], -v[145:146]
	v_add_f64 v[64:65], v[129:130], v[183:184]
	v_add_f64 v[66:67], v[183:184], v[177:178]
	;; [unrolled: 1-line block ×6, first 2 shown]
	v_add_f64 v[108:109], v[183:184], -v[177:178]
	v_add_f64 v[110:111], v[0:1], v[104:105]
	v_add_f64 v[183:184], v[106:107], -v[8:9]
	v_add_f64 v[106:107], v[2:3], v[106:107]
	v_fma_f64 v[2:3], v[62:63], -0.5, v[2:3]
	v_add_f64 v[62:63], v[16:17], v[149:150]
	v_add_f64 v[68:69], v[185:186], -v[181:182]
	v_add_f64 v[185:186], v[174:175], v[137:138]
	v_add_f64 v[104:105], v[104:105], -v[153:154]
	v_add_f64 v[137:138], v[137:138], -v[170:171]
	v_fma_f64 v[0:1], v[60:61], -0.5, v[0:1]
	v_add_f64 v[60:61], v[149:150], -v[52:53]
	v_fma_f64 v[4:5], v[4:5], -0.5, v[22:23]
	v_fma_f64 v[6:7], v[6:7], -0.5, v[24:25]
	v_add_f64 v[22:23], v[187:188], v[139:140]
	v_add_f64 v[24:25], v[139:140], v[172:173]
	;; [unrolled: 1-line block ×5, first 2 shown]
	v_fma_f64 v[74:75], v[74:75], -0.5, v[14:15]
	v_fma_f64 v[76:77], v[76:77], -0.5, v[16:17]
	v_add_f64 v[14:15], v[116:117], v[54:55]
	v_add_f64 v[16:17], v[30:31], v[118:119]
	;; [unrolled: 1-line block ×5, first 2 shown]
	v_fma_f64 v[66:67], v[66:67], -0.5, v[129:130]
	v_add_f64 v[72:73], v[72:73], v[181:182]
	v_add_f64 v[177:178], v[20:21], v[48:49]
	v_fma_f64 v[78:79], v[78:79], -0.5, v[157:158]
	v_add_f64 v[157:158], v[151:152], v[102:103]
	v_add_f64 v[110:111], v[110:111], v[153:154]
	;; [unrolled: 1-line block ×4, first 2 shown]
	v_add_f64 v[106:107], v[40:41], -v[32:33]
	v_add_f64 v[181:182], v[56:57], v[40:41]
	v_add_f64 v[40:41], v[40:41], v[32:33]
	;; [unrolled: 1-line block ×4, first 2 shown]
	v_fma_f64 v[24:25], v[24:25], -0.5, v[187:188]
	v_add_f64 v[52:53], v[62:63], v[52:53]
	v_add_f64 v[62:63], v[82:83], v[98:99]
	v_add_f64 v[135:136], v[135:136], -v[155:156]
	v_add_f64 v[129:130], v[48:49], -v[36:37]
	v_add_f64 v[48:49], v[48:49], v[36:37]
	v_add_f64 v[170:171], v[185:186], v[170:171]
	v_fma_f64 v[174:175], v[189:190], -0.5, v[174:175]
	v_add_f64 v[185:186], v[26:27], v[179:180]
	v_add_f64 v[139:140], v[139:140], v[155:156]
	;; [unrolled: 1-line block ×4, first 2 shown]
	v_add_f64 v[116:117], v[116:117], -v[54:55]
	v_add_f64 v[145:146], v[18:19], v[58:59]
	v_add_f64 v[102:103], v[102:103], -v[42:43]
	v_add_f64 v[187:188], v[38:39], v[90:91]
	v_add_f64 v[54:55], v[149:150], v[54:55]
	v_fma_f64 v[133:134], v[14:15], -0.5, v[133:134]
	v_add_f64 v[189:190], v[86:87], v[44:45]
	v_add_f64 v[100:101], v[16:17], v[100:101]
	v_add_f64 v[44:45], v[44:45], -v[94:95]
	v_fma_f64 v[30:31], v[118:119], -0.5, v[30:31]
	v_add_f64 v[177:178], v[177:178], v[36:37]
	v_fma_f64 v[36:37], v[147:148], -0.5, v[18:19]
	v_add_f64 v[147:148], v[157:158], v[42:43]
	;; [unrolled: 2-line block ×3, first 2 shown]
	v_fma_f64 v[32:33], v[40:41], -0.5, v[56:57]
	v_fma_f64 v[153:154], v[172:173], -0.5, v[26:27]
	;; [unrolled: 1-line block ×3, first 2 shown]
	v_fma_f64 v[172:173], v[68:69], s[6:7], v[66:67]
	v_fma_f64 v[66:67], v[68:69], s[4:5], v[66:67]
	;; [unrolled: 1-line block ×6, first 2 shown]
	v_add_f64 v[58:59], v[58:59], -v[50:51]
	v_add_f64 v[179:180], v[179:180], -v[70:71]
	v_fma_f64 v[48:49], v[48:49], -0.5, v[20:21]
	v_fma_f64 v[40:41], v[155:156], -0.5, v[86:87]
	v_add_f64 v[155:156], v[185:186], v[70:71]
	v_fma_f64 v[62:63], v[12:13], s[6:7], v[4:5]
	v_fma_f64 v[70:71], v[12:13], s[4:5], v[4:5]
	;; [unrolled: 1-line block ×4, first 2 shown]
	v_add_f64 v[6:7], v[34:35], v[72:73]
	v_add_f64 v[12:13], v[34:35], -v[72:73]
	v_fma_f64 v[72:73], v[104:105], s[4:5], v[2:3]
	v_fma_f64 v[2:3], v[104:105], s[6:7], v[2:3]
	;; [unrolled: 1-line block ×3, first 2 shown]
	v_add_f64 v[149:150], v[28:29], v[38:39]
	v_add_f64 v[195:196], v[82:83], -v[98:99]
	v_add_f64 v[118:119], v[112:113], v[168:169]
	v_add_f64 v[145:146], v[145:146], v[50:51]
	v_add_f64 v[50:51], v[114:115], v[96:97]
	v_fma_f64 v[157:158], v[187:188], -0.5, v[28:29]
	v_fma_f64 v[34:35], v[191:192], s[6:7], v[174:175]
	v_add_f64 v[14:15], v[110:111], v[170:171]
	v_add_f64 v[16:17], v[8:9], v[22:23]
	v_add_f64 v[18:19], v[110:111], -v[170:171]
	v_add_f64 v[20:21], v[8:9], -v[22:23]
	v_fma_f64 v[8:9], v[60:61], s[6:7], v[74:75]
	v_fma_f64 v[74:75], v[60:61], s[4:5], v[74:75]
	;; [unrolled: 1-line block ×8, first 2 shown]
	v_add_f64 v[22:23], v[139:140], v[54:55]
	v_add_f64 v[24:25], v[52:53], v[100:101]
	v_add_f64 v[26:27], v[139:140], -v[54:55]
	v_add_f64 v[28:29], v[52:53], -v[100:101]
	v_mul_f64 v[52:53], v[68:69], s[6:7]
	v_fma_f64 v[139:140], v[106:107], s[4:5], v[42:43]
	v_mul_f64 v[170:171], v[78:79], -0.5
	v_fma_f64 v[42:43], v[106:107], s[6:7], v[42:43]
	v_mul_f64 v[106:107], v[108:109], s[6:7]
	v_fma_f64 v[185:186], v[44:45], s[4:5], v[56:57]
	v_fma_f64 v[187:188], v[44:45], s[6:7], v[56:57]
	v_mul_f64 v[44:45], v[137:138], -0.5
	v_fma_f64 v[54:55], v[102:103], s[4:5], v[32:33]
	v_fma_f64 v[32:33], v[102:103], s[6:7], v[32:33]
	;; [unrolled: 1-line block ×4, first 2 shown]
	v_mul_f64 v[48:49], v[104:105], -0.5
	v_add_f64 v[4:5], v[10:11], v[64:65]
	v_add_f64 v[10:11], v[10:11], -v[64:65]
	v_fma_f64 v[64:65], v[183:184], s[6:7], v[0:1]
	v_fma_f64 v[0:1], v[183:184], s[4:5], v[0:1]
	;; [unrolled: 1-line block ×4, first 2 shown]
	v_mul_f64 v[36:37], v[66:67], -0.5
	v_mul_f64 v[129:130], v[172:173], s[4:5]
	v_fma_f64 v[181:182], v[195:196], s[6:7], v[40:41]
	v_fma_f64 v[183:184], v[195:196], s[4:5], v[40:41]
	v_mul_f64 v[40:41], v[34:35], s[4:5]
	v_mul_f64 v[56:57], v[135:136], s[6:7]
	v_mul_f64 v[58:59], v[60:61], s[4:5]
	v_mul_f64 v[191:192], v[133:134], -0.5
	v_fma_f64 v[52:53], v[172:173], 0.5, v[52:53]
	v_mul_f64 v[172:173], v[30:31], -0.5
	v_fma_f64 v[66:67], v[66:67], s[4:5], v[170:171]
	v_fma_f64 v[106:107], v[34:35], 0.5, v[106:107]
	v_add_f64 v[197:198], v[114:115], -v[96:97]
	v_fma_f64 v[104:105], v[104:105], s[4:5], v[44:45]
	v_add_f64 v[199:200], v[112:113], -v[168:169]
	v_fma_f64 v[118:119], v[118:119], -0.5, v[141:142]
	v_fma_f64 v[205:206], v[50:51], -0.5, v[92:93]
	v_mul_f64 v[170:171], v[42:43], s[4:5]
	v_fma_f64 v[137:138], v[137:138], s[6:7], v[48:49]
	v_mul_f64 v[34:35], v[32:33], -0.5
	v_add_f64 v[193:194], v[38:39], -v[90:91]
	v_add_f64 v[195:196], v[80:81], v[143:144]
	v_fma_f64 v[78:79], v[78:79], s[6:7], v[36:37]
	v_mul_f64 v[36:37], v[54:55], s[6:7]
	v_fma_f64 v[68:69], v[68:69], 0.5, v[129:130]
	v_mul_f64 v[129:130], v[139:140], -0.5
	v_fma_f64 v[108:109], v[108:109], 0.5, v[40:41]
	v_fma_f64 v[201:202], v[60:61], 0.5, v[56:57]
	v_add_f64 v[203:204], v[88:89], v[166:167]
	v_fma_f64 v[135:136], v[135:136], 0.5, v[58:59]
	v_fma_f64 v[191:192], v[30:31], s[6:7], v[191:192]
	v_fma_f64 v[133:134], v[133:134], s[4:5], v[172:173]
	v_add_f64 v[40:41], v[46:47], v[66:67]
	v_add_f64 v[44:45], v[46:47], -v[66:67]
	v_add_f64 v[46:47], v[64:65], v[106:107]
	v_add_f64 v[50:51], v[64:65], -v[106:107]
	;; [unrolled: 2-line block ×3, first 2 shown]
	v_fma_f64 v[2:3], v[197:198], s[4:5], v[118:119]
	v_fma_f64 v[106:107], v[199:200], s[6:7], v[205:206]
	v_fma_f64 v[170:171], v[54:55], 0.5, v[170:171]
	v_add_f64 v[54:55], v[0:1], v[137:138]
	v_add_f64 v[58:59], v[0:1], -v[137:138]
	v_fma_f64 v[0:1], v[199:200], s[4:5], v[205:206]
	v_fma_f64 v[104:105], v[197:198], s[6:7], v[118:119]
	v_add_f64 v[82:83], v[84:85], v[82:83]
	v_mul_f64 v[207:208], v[185:186], s[6:7]
	v_fma_f64 v[172:173], v[42:43], 0.5, v[36:37]
	v_fma_f64 v[129:130], v[32:33], s[6:7], v[129:130]
	v_fma_f64 v[139:140], v[139:140], s[4:5], v[34:35]
	v_add_f64 v[30:31], v[62:63], v[52:53]
	v_add_f64 v[32:33], v[86:87], v[68:69]
	v_add_f64 v[34:35], v[62:63], -v[52:53]
	v_add_f64 v[36:37], v[86:87], -v[68:69]
	v_add_f64 v[38:39], v[70:71], v[78:79]
	v_add_f64 v[42:43], v[70:71], -v[78:79]
	v_add_f64 v[48:49], v[72:73], v[108:109]
	;; [unrolled: 2-line block ×4, first 2 shown]
	v_add_f64 v[72:73], v[76:77], v[133:134]
	v_add_f64 v[74:75], v[74:75], -v[191:192]
	v_add_f64 v[76:77], v[76:77], -v[133:134]
	v_fma_f64 v[118:119], v[193:194], s[6:7], v[153:154]
	v_mul_f64 v[86:87], v[183:184], -0.5
	v_fma_f64 v[133:134], v[193:194], s[4:5], v[153:154]
	v_add_f64 v[135:136], v[149:150], v[90:91]
	v_fma_f64 v[137:138], v[179:180], s[4:5], v[157:158]
	v_fma_f64 v[149:150], v[179:180], s[6:7], v[157:158]
	v_mul_f64 v[84:85], v[181:182], s[4:5]
	v_mul_f64 v[90:91], v[187:188], -0.5
	v_add_f64 v[108:109], v[125:126], v[80:81]
	v_fma_f64 v[110:111], v[195:196], -0.5, v[125:126]
	v_add_f64 v[125:126], v[88:89], -v[166:167]
	v_add_f64 v[153:154], v[189:190], v[94:95]
	v_add_f64 v[157:158], v[127:128], v[88:89]
	v_fma_f64 v[127:128], v[203:204], -0.5, v[127:128]
	v_add_f64 v[179:180], v[80:81], -v[143:144]
	v_mul_f64 v[189:190], v[2:3], -0.5
	v_mul_f64 v[191:192], v[106:107], -0.5
	v_add_f64 v[112:113], v[141:142], v[112:113]
	v_add_f64 v[92:93], v[92:93], v[114:115]
	v_mul_f64 v[141:142], v[0:1], s[6:7]
	v_mul_f64 v[114:115], v[104:105], s[4:5]
	v_add_f64 v[193:194], v[82:83], v[98:99]
	v_fma_f64 v[181:182], v[181:182], 0.5, v[207:208]
	v_fma_f64 v[187:188], v[187:188], s[6:7], v[86:87]
	v_add_f64 v[82:83], v[100:101], v[172:173]
	v_add_f64 v[94:95], v[100:101], -v[172:173]
	v_add_f64 v[62:63], v[8:9], v[201:202]
	v_add_f64 v[66:67], v[8:9], -v[201:202]
	v_fma_f64 v[185:186], v[185:186], 0.5, v[84:85]
	v_fma_f64 v[183:184], v[183:184], s[4:5], v[90:91]
	v_add_f64 v[195:196], v[108:109], v[143:144]
	v_add_f64 v[86:87], v[116:117], v[129:130]
	v_fma_f64 v[199:200], v[125:126], s[4:5], v[110:111]
	v_fma_f64 v[197:198], v[125:126], s[6:7], v[110:111]
	v_add_f64 v[157:158], v[157:158], v[166:167]
	v_add_f64 v[88:89], v[174:175], v[139:140]
	v_fma_f64 v[172:173], v[179:180], s[6:7], v[127:128]
	v_fma_f64 v[189:190], v[106:107], s[6:7], v[189:190]
	;; [unrolled: 1-line block ×3, first 2 shown]
	v_add_f64 v[168:169], v[112:113], v[168:169]
	v_add_f64 v[201:202], v[92:93], v[96:97]
	v_fma_f64 v[166:167], v[179:180], s[4:5], v[127:128]
	v_fma_f64 v[179:180], v[104:105], 0.5, v[141:142]
	v_fma_f64 v[203:204], v[0:1], 0.5, v[114:115]
	v_add_f64 v[90:91], v[145:146], -v[147:148]
	v_add_f64 v[92:93], v[177:178], -v[151:152]
	;; [unrolled: 1-line block ×3, first 2 shown]
	v_add_f64 v[78:79], v[145:146], v[147:148]
	v_add_f64 v[80:81], v[177:178], v[151:152]
	v_add_f64 v[98:99], v[116:117], -v[129:130]
	v_add_f64 v[100:101], v[174:175], -v[139:140]
	v_add_f64 v[84:85], v[102:103], v[170:171]
	v_add_f64 v[102:103], v[155:156], v[153:154]
	;; [unrolled: 1-line block ×7, first 2 shown]
	v_add_f64 v[114:115], v[155:156], -v[153:154]
	v_add_f64 v[0:1], v[199:200], -v[189:190]
	v_add_f64 v[147:148], v[172:173], v[2:3]
	v_add_f64 v[2:3], v[172:173], -v[2:3]
	v_add_f64 v[116:117], v[135:136], -v[193:194]
	;; [unrolled: 1-line block ×6, first 2 shown]
	v_add_f64 v[137:138], v[195:196], v[168:169]
	v_add_f64 v[139:140], v[157:158], v[201:202]
	;; [unrolled: 1-line block ×5, first 2 shown]
	v_add_f64 v[149:150], v[195:196], -v[168:169]
	v_add_f64 v[151:152], v[157:158], -v[201:202]
	;; [unrolled: 1-line block ×4, first 2 shown]
	ds_write_b128 v176, v[4:7]
	ds_write_b128 v176, v[30:33] offset:960
	ds_write_b128 v176, v[38:41] offset:1920
	;; [unrolled: 1-line block ×7, first 2 shown]
	v_lshl_add_u32 v4, v120, 4, 0
	v_lshl_add_u32 v5, v123, 4, 0
	v_add_co_u32 v8, s0, s12, v121
	v_add_co_ci_u32_e64 v9, null, s13, 0, s0
	ds_write_b128 v176, v[54:57] offset:7680
	ds_write_b128 v176, v[18:21] offset:8640
	;; [unrolled: 1-line block ×12, first 2 shown]
	v_lshl_add_u32 v4, v122, 4, 0
	ds_write_b128 v5, v[86:89] offset:19200
	ds_write_b128 v5, v[90:93] offset:20160
	;; [unrolled: 1-line block ×6, first 2 shown]
	v_lshl_add_u32 v5, v124, 4, 0
	v_add_co_u32 v12, s0, 0x1000, v8
	v_add_co_ci_u32_e64 v13, s0, 0, v9, s0
	ds_write_b128 v4, v[110:113] offset:24960
	ds_write_b128 v4, v[114:117] offset:25920
	;; [unrolled: 1-line block ×10, first 2 shown]
	v_add_co_u32 v0, s0, 0x15e0, v8
	v_add_co_ci_u32_e64 v1, s0, 0, v9, s0
	s_waitcnt lgkmcnt(0)
	s_barrier
	buffer_gl0_inv
	s_clause 0x2
	global_load_dwordx4 v[4:7], v[12:13], off offset:1504
	global_load_dwordx4 v[20:23], v[0:1], off offset:16
	;; [unrolled: 1-line block ×3, first 2 shown]
	v_mul_u32_u24_e32 v2, 5, v132
	s_clause 0x1
	global_load_dwordx4 v[8:11], v[0:1], off offset:48
	global_load_dwordx4 v[12:15], v[12:13], off offset:1568
	v_lshlrev_b32_e32 v92, 4, v2
	v_add_co_u32 v68, s0, s12, v92
	v_add_co_ci_u32_e64 v69, null, s13, 0, s0
	v_add_nc_u32_e32 v76, 0x3840, v92
	v_add_co_u32 v0, s0, 0x1000, v68
	v_add_co_ci_u32_e64 v1, s0, 0, v69, s0
	v_add_co_u32 v2, s0, 0x15e0, v68
	v_add_co_ci_u32_e64 v3, s0, 0, v69, s0
	s_clause 0x4
	global_load_dwordx4 v[24:27], v[0:1], off offset:1504
	global_load_dwordx4 v[36:39], v[2:3], off offset:16
	;; [unrolled: 1-line block ×5, first 2 shown]
	v_add_co_u32 v0, s0, 0x2800, v68
	v_add_co_ci_u32_e64 v1, s0, 0, v69, s0
	v_add_co_u32 v2, s0, 0x28a0, v68
	v_add_co_ci_u32_e64 v3, s0, 0, v69, s0
	s_clause 0x4
	global_load_dwordx4 v[44:47], v[0:1], off offset:160
	global_load_dwordx4 v[56:59], v[2:3], off offset:16
	;; [unrolled: 1-line block ×5, first 2 shown]
	v_add_co_u32 v0, s0, 0x3800, v68
	v_add_co_ci_u32_e64 v1, s0, 0, v69, s0
	v_add_co_u32 v2, s0, 0x3b60, v68
	v_add_co_ci_u32_e64 v3, s0, 0, v69, s0
	s_clause 0x2
	global_load_dwordx4 v[64:67], v[0:1], off offset:864
	global_load_dwordx4 v[68:71], v[2:3], off offset:16
	;; [unrolled: 1-line block ×3, first 2 shown]
	v_add_co_u32 v88, s0, s12, v76
	v_add_co_ci_u32_e64 v89, null, s13, 0, s0
	global_load_dwordx4 v[76:79], v[2:3], off offset:48
	v_add_co_u32 v2, s0, 0x1000, v88
	v_add_co_ci_u32_e64 v3, s0, 0, v89, s0
	s_clause 0x1
	global_load_dwordx4 v[80:83], v[0:1], off offset:928
	global_load_dwordx4 v[84:87], v[2:3], off offset:1504
	v_add_nc_u32_e32 v100, 0x4b00, v92
	v_add_co_u32 v0, s0, 0x15e0, v88
	v_add_co_ci_u32_e64 v1, s0, 0, v89, s0
	v_add_co_u32 v104, s0, s12, v100
	v_add_co_ci_u32_e64 v105, null, s13, 0, s0
	s_clause 0x2
	global_load_dwordx4 v[88:91], v[0:1], off offset:16
	global_load_dwordx4 v[92:95], v[0:1], off offset:32
	;; [unrolled: 1-line block ×3, first 2 shown]
	v_add_co_u32 v0, s0, 0x1000, v104
	v_add_co_ci_u32_e64 v1, s0, 0, v105, s0
	global_load_dwordx4 v[100:103], v[2:3], off offset:1568
	v_add_co_u32 v2, s0, 0x15e0, v104
	v_add_co_ci_u32_e64 v3, s0, 0, v105, s0
	s_clause 0x4
	global_load_dwordx4 v[104:107], v[0:1], off offset:1504
	global_load_dwordx4 v[108:111], v[2:3], off offset:16
	;; [unrolled: 1-line block ×5, first 2 shown]
	ds_read_b128 v[124:127], v176 offset:5760
	ds_read_b128 v[128:131], v176 offset:11520
	;; [unrolled: 1-line block ×12, first 2 shown]
	s_waitcnt vmcnt(29) lgkmcnt(11)
	v_mul_f64 v[174:175], v[126:127], v[6:7]
	s_waitcnt vmcnt(28) lgkmcnt(10)
	v_mul_f64 v[177:178], v[130:131], v[22:23]
	v_mul_f64 v[22:23], v[128:129], v[22:23]
	s_waitcnt vmcnt(27) lgkmcnt(9)
	v_mul_f64 v[179:180], v[134:135], v[18:19]
	;; [unrolled: 3-line block ×3, first 2 shown]
	v_mul_f64 v[10:11], v[136:137], v[10:11]
	v_mul_f64 v[181:182], v[132:133], v[18:19]
	s_waitcnt vmcnt(25) lgkmcnt(6)
	v_mul_f64 v[187:188], v[142:143], v[14:15]
	v_mul_f64 v[189:190], v[140:141], v[14:15]
	v_fma_f64 v[174:175], v[124:125], v[4:5], -v[174:175]
	v_fma_f64 v[177:178], v[128:129], v[20:21], -v[177:178]
	v_fma_f64 v[191:192], v[130:131], v[20:21], v[22:23]
	v_fma_f64 v[132:133], v[132:133], v[16:17], -v[179:180]
	s_waitcnt vmcnt(24) lgkmcnt(3)
	v_mul_f64 v[22:23], v[154:155], v[26:27]
	v_mul_f64 v[26:27], v[152:153], v[26:27]
	s_waitcnt vmcnt(23) lgkmcnt(1)
	v_mul_f64 v[179:180], v[168:169], v[38:39]
	v_mul_f64 v[38:39], v[166:167], v[38:39]
	v_fma_f64 v[185:186], v[126:127], v[4:5], v[6:7]
	ds_read_b128 v[4:7], v176 offset:18240
	ds_read_b128 v[18:21], v176 offset:24000
	;; [unrolled: 1-line block ×3, first 2 shown]
	v_fma_f64 v[136:137], v[136:137], v[8:9], -v[183:184]
	v_fma_f64 v[138:139], v[138:139], v[8:9], v[10:11]
	ds_read_b128 v[8:11], v176 offset:29760
	v_fma_f64 v[134:135], v[134:135], v[16:17], v[181:182]
	v_fma_f64 v[140:141], v[140:141], v[12:13], -v[187:188]
	v_fma_f64 v[142:143], v[142:143], v[12:13], v[189:190]
	ds_read_b128 v[14:17], v176 offset:13440
	ds_read_b128 v[128:131], v176 offset:19200
	v_fma_f64 v[152:153], v[152:153], v[24:25], -v[22:23]
	v_fma_f64 v[154:155], v[154:155], v[24:25], v[26:27]
	ds_read_b128 v[22:25], v176 offset:24960
	s_waitcnt vmcnt(22) lgkmcnt(6)
	v_mul_f64 v[12:13], v[6:7], v[34:35]
	v_mul_f64 v[181:182], v[4:5], v[34:35]
	v_fma_f64 v[168:169], v[168:169], v[36:37], v[38:39]
	s_waitcnt vmcnt(21) lgkmcnt(5)
	v_mul_f64 v[26:27], v[20:21], v[30:31]
	s_waitcnt vmcnt(20) lgkmcnt(3)
	v_mul_f64 v[38:39], v[10:11], v[42:43]
	v_mul_f64 v[42:43], v[8:9], v[42:43]
	;; [unrolled: 1-line block ×3, first 2 shown]
	v_fma_f64 v[166:167], v[166:167], v[36:37], -v[179:180]
	ds_read_b128 v[34:37], v176 offset:30720
	v_fma_f64 v[179:180], v[4:5], v[32:33], -v[12:13]
	v_fma_f64 v[181:182], v[6:7], v[32:33], v[181:182]
	s_waitcnt vmcnt(19)
	v_mul_f64 v[12:13], v[126:127], v[46:47]
	v_mul_f64 v[32:33], v[124:125], v[46:47]
	v_fma_f64 v[189:190], v[8:9], v[40:41], -v[38:39]
	v_fma_f64 v[193:194], v[10:11], v[40:41], v[42:43]
	s_waitcnt vmcnt(16) lgkmcnt(1)
	v_mul_f64 v[38:39], v[24:25], v[50:51]
	v_mul_f64 v[40:41], v[22:23], v[50:51]
	ds_read_b128 v[8:11], v176 offset:14400
	v_mul_f64 v[46:47], v[16:17], v[58:59]
	v_mul_f64 v[58:59], v[14:15], v[58:59]
	s_waitcnt vmcnt(15) lgkmcnt(1)
	v_mul_f64 v[42:43], v[36:37], v[62:63]
	v_fma_f64 v[183:184], v[18:19], v[28:29], -v[26:27]
	v_fma_f64 v[187:188], v[20:21], v[28:29], v[30:31]
	ds_read_b128 v[18:21], v176 offset:20160
	v_mul_f64 v[26:27], v[130:131], v[54:55]
	ds_read_b128 v[4:7], v176 offset:8640
	v_mul_f64 v[28:29], v[128:129], v[54:55]
	v_fma_f64 v[124:125], v[124:125], v[44:45], -v[12:13]
	v_fma_f64 v[126:127], v[126:127], v[44:45], v[32:33]
	v_mul_f64 v[44:45], v[34:35], v[62:63]
	v_fma_f64 v[199:200], v[22:23], v[48:49], -v[38:39]
	v_fma_f64 v[201:202], v[24:25], v[48:49], v[40:41]
	s_waitcnt vmcnt(13) lgkmcnt(2)
	v_mul_f64 v[38:39], v[10:11], v[70:71]
	v_fma_f64 v[195:196], v[14:15], v[56:57], -v[46:47]
	ds_read_b128 v[12:15], v176 offset:9600
	v_fma_f64 v[197:198], v[16:17], v[56:57], v[58:59]
	v_mul_f64 v[40:41], v[8:9], v[70:71]
	v_fma_f64 v[203:204], v[34:35], v[60:61], -v[42:43]
	s_waitcnt lgkmcnt(1)
	v_mul_f64 v[16:17], v[6:7], v[66:67]
	v_mul_f64 v[46:47], v[4:5], v[66:67]
	s_waitcnt vmcnt(12)
	v_mul_f64 v[42:43], v[20:21], v[74:75]
	v_fma_f64 v[128:129], v[128:129], v[52:53], -v[26:27]
	v_fma_f64 v[130:131], v[130:131], v[52:53], v[28:29]
	ds_read_b128 v[26:29], v176 offset:25920
	ds_read_b128 v[30:33], v176 offset:15360
	;; [unrolled: 1-line block ×3, first 2 shown]
	v_fma_f64 v[205:206], v[36:37], v[60:61], v[44:45]
	v_mul_f64 v[44:45], v[18:19], v[74:75]
	ds_read_b128 v[34:37], v176 offset:21120
	v_fma_f64 v[52:53], v[8:9], v[68:69], -v[38:39]
	v_fma_f64 v[66:67], v[4:5], v[64:65], -v[16:17]
	v_fma_f64 v[62:63], v[6:7], v[64:65], v[46:47]
	ds_read_b128 v[4:7], v176 offset:26880
	s_waitcnt vmcnt(11) lgkmcnt(4)
	v_mul_f64 v[16:17], v[28:29], v[78:79]
	v_mul_f64 v[46:47], v[26:27], v[78:79]
	v_fma_f64 v[64:65], v[10:11], v[68:69], v[40:41]
	ds_read_b128 v[8:11], v176 offset:32640
	s_waitcnt vmcnt(10) lgkmcnt(3)
	v_mul_f64 v[38:39], v[24:25], v[82:83]
	v_fma_f64 v[70:71], v[18:19], v[72:73], -v[42:43]
	s_waitcnt vmcnt(9)
	v_mul_f64 v[18:19], v[14:15], v[86:87]
	v_mul_f64 v[42:43], v[12:13], v[86:87]
	;; [unrolled: 1-line block ×3, first 2 shown]
	s_waitcnt vmcnt(8)
	v_mul_f64 v[48:49], v[30:31], v[90:91]
	v_fma_f64 v[68:69], v[20:21], v[72:73], v[44:45]
	v_mul_f64 v[44:45], v[32:33], v[90:91]
	s_waitcnt vmcnt(2)
	v_mul_f64 v[86:87], v[158:159], v[114:115]
	v_fma_f64 v[58:59], v[26:27], v[76:77], -v[16:17]
	v_fma_f64 v[54:55], v[28:29], v[76:77], v[46:47]
	s_waitcnt lgkmcnt(2)
	v_mul_f64 v[26:27], v[34:35], v[94:95]
	s_waitcnt lgkmcnt(1)
	v_mul_f64 v[28:29], v[6:7], v[98:99]
	v_fma_f64 v[60:61], v[22:23], v[80:81], -v[38:39]
	v_mul_f64 v[38:39], v[4:5], v[98:99]
	v_fma_f64 v[20:21], v[12:13], v[84:85], -v[18:19]
	v_fma_f64 v[18:19], v[14:15], v[84:85], v[42:43]
	v_mul_f64 v[42:43], v[146:147], v[106:107]
	v_mul_f64 v[46:47], v[144:145], v[106:107]
	;; [unrolled: 1-line block ×3, first 2 shown]
	v_fma_f64 v[56:57], v[24:25], v[80:81], v[40:41]
	ds_read_b128 v[22:25], v176 offset:33600
	ds_read_b128 v[72:75], v176
	v_mul_f64 v[16:17], v[36:37], v[94:95]
	s_waitcnt lgkmcnt(2)
	v_mul_f64 v[12:13], v[10:11], v[102:103]
	v_mul_f64 v[40:41], v[8:9], v[102:103]
	v_fma_f64 v[44:45], v[30:31], v[88:89], -v[44:45]
	v_fma_f64 v[50:51], v[32:33], v[88:89], v[48:49]
	v_mul_f64 v[32:33], v[150:151], v[110:111]
	v_mul_f64 v[88:89], v[156:157], v[114:115]
	v_add_f64 v[102:103], v[134:135], -v[142:143]
	v_add_f64 v[106:107], v[181:182], v[193:194]
	ds_read_b128 v[76:79], v176 offset:960
	ds_read_b128 v[80:83], v176 offset:1920
	v_add_f64 v[114:115], v[166:167], v[183:184]
	v_fma_f64 v[30:31], v[36:37], v[92:93], v[26:27]
	v_fma_f64 v[48:49], v[4:5], v[96:97], -v[28:29]
	s_waitcnt vmcnt(1)
	v_mul_f64 v[26:27], v[170:171], v[118:119]
	v_fma_f64 v[36:37], v[6:7], v[96:97], v[38:39]
	v_add_f64 v[96:97], v[191:192], v[138:139]
	v_add_f64 v[98:99], v[177:178], -v[136:137]
	v_fma_f64 v[38:39], v[144:145], v[104:105], -v[42:43]
	s_waitcnt vmcnt(0) lgkmcnt(3)
	v_mul_f64 v[90:91], v[24:25], v[122:123]
	v_fma_f64 v[28:29], v[146:147], v[104:105], v[46:47]
	v_fma_f64 v[46:47], v[150:151], v[108:109], v[84:85]
	v_fma_f64 v[42:43], v[156:157], v[112:113], -v[86:87]
	v_add_f64 v[84:85], v[134:135], v[142:143]
	v_add_f64 v[86:87], v[132:133], v[140:141]
	v_fma_f64 v[34:35], v[34:35], v[92:93], -v[16:17]
	v_mul_f64 v[92:93], v[22:23], v[122:123]
	v_fma_f64 v[14:15], v[8:9], v[100:101], -v[12:13]
	v_fma_f64 v[12:13], v[10:11], v[100:101], v[40:41]
	v_fma_f64 v[40:41], v[148:149], v[108:109], -v[32:33]
	v_fma_f64 v[32:33], v[158:159], v[112:113], v[88:89]
	v_add_f64 v[108:109], v[132:133], -v[140:141]
	v_add_f64 v[112:113], v[179:180], v[189:190]
	v_add_f64 v[158:159], v[130:131], v[205:206]
	v_mul_f64 v[16:17], v[172:173], v[118:119]
	s_waitcnt lgkmcnt(2)
	v_add_f64 v[88:89], v[72:73], v[177:178]
	v_add_f64 v[94:95], v[74:75], v[191:192]
	v_add_f64 v[100:101], v[174:175], v[132:133]
	v_add_f64 v[104:105], v[185:186], v[134:135]
	s_waitcnt lgkmcnt(1)
	v_add_f64 v[110:111], v[76:77], v[166:167]
	v_add_f64 v[122:123], v[166:167], -v[183:184]
	v_fma_f64 v[22:23], v[22:23], v[120:121], -v[90:91]
	v_add_f64 v[90:91], v[177:178], v[136:137]
	v_add_f64 v[134:135], v[181:182], -v[193:194]
	v_add_f64 v[144:145], v[154:155], v[181:182]
	v_fma_f64 v[84:85], v[84:85], -0.5, v[185:186]
	v_fma_f64 v[86:87], v[86:87], -0.5, v[174:175]
	v_add_f64 v[146:147], v[179:180], -v[189:190]
	v_add_f64 v[166:167], v[128:129], v[203:204]
	v_fma_f64 v[106:107], v[106:107], -0.5, v[154:155]
	v_add_f64 v[154:155], v[124:125], v[128:129]
	v_add_f64 v[128:129], v[128:129], -v[203:204]
	v_fma_f64 v[74:75], v[96:97], -0.5, v[74:75]
	v_fma_f64 v[24:25], v[24:25], v[120:121], v[92:93]
	v_fma_f64 v[112:113], v[112:113], -0.5, v[152:153]
	v_add_f64 v[92:93], v[191:192], -v[138:139]
	v_fma_f64 v[16:17], v[170:171], v[116:117], -v[16:17]
	v_add_f64 v[120:121], v[168:169], v[187:188]
	v_add_f64 v[132:133], v[152:153], v[179:180]
	s_waitcnt lgkmcnt(0)
	v_add_f64 v[148:149], v[80:81], v[195:196]
	v_add_f64 v[150:151], v[195:196], v[199:200]
	;; [unrolled: 1-line block ×3, first 2 shown]
	v_add_f64 v[152:153], v[130:131], -v[205:206]
	v_add_f64 v[130:131], v[126:127], v[130:131]
	v_fma_f64 v[72:73], v[90:91], -0.5, v[72:73]
	v_add_f64 v[88:89], v[88:89], v[136:137]
	v_add_f64 v[100:101], v[100:101], v[140:141]
	v_fma_f64 v[90:91], v[108:109], s[4:5], v[84:85]
	v_fma_f64 v[96:97], v[102:103], s[6:7], v[86:87]
	;; [unrolled: 1-line block ×4, first 2 shown]
	v_fma_f64 v[108:109], v[158:159], -0.5, v[126:127]
	v_add_f64 v[102:103], v[68:69], v[56:57]
	v_fma_f64 v[124:125], v[166:167], -0.5, v[124:125]
	v_fma_f64 v[126:127], v[146:147], s[4:5], v[106:107]
	v_fma_f64 v[114:115], v[114:115], -0.5, v[76:77]
	v_fma_f64 v[140:141], v[134:135], s[4:5], v[112:113]
	v_fma_f64 v[112:113], v[134:135], s[6:7], v[112:113]
	;; [unrolled: 1-line block ×3, first 2 shown]
	v_add_f64 v[134:135], v[144:145], v[193:194]
	v_fma_f64 v[26:27], v[172:173], v[116:117], v[26:27]
	v_add_f64 v[116:117], v[168:169], -v[187:188]
	v_add_f64 v[118:119], v[78:79], v[168:169]
	v_add_f64 v[156:157], v[197:198], -v[201:202]
	v_add_f64 v[168:169], v[82:83], v[197:198]
	v_add_f64 v[136:137], v[70:71], v[60:61]
	;; [unrolled: 1-line block ×4, first 2 shown]
	v_fma_f64 v[120:121], v[120:121], -0.5, v[78:79]
	v_mul_f64 v[76:77], v[90:91], s[6:7]
	v_mul_f64 v[78:79], v[96:97], s[4:5]
	v_mul_f64 v[144:145], v[86:87], -0.5
	v_mul_f64 v[146:147], v[84:85], -0.5
	v_fma_f64 v[166:167], v[128:129], s[4:5], v[108:109]
	v_add_f64 v[142:143], v[148:149], v[199:200]
	v_fma_f64 v[148:149], v[150:151], -0.5, v[80:81]
	v_fma_f64 v[150:151], v[170:171], -0.5, v[82:83]
	;; [unrolled: 1-line block ×3, first 2 shown]
	v_fma_f64 v[82:83], v[92:93], s[6:7], v[72:73]
	v_fma_f64 v[170:171], v[152:153], s[4:5], v[124:125]
	;; [unrolled: 1-line block ×3, first 2 shown]
	v_mul_f64 v[80:81], v[126:127], s[6:7]
	v_fma_f64 v[92:93], v[98:99], s[4:5], v[74:75]
	v_mul_f64 v[177:178], v[140:141], -0.5
	v_fma_f64 v[98:99], v[98:99], s[6:7], v[74:75]
	v_mul_f64 v[179:180], v[112:113], s[4:5]
	v_mul_f64 v[181:182], v[106:107], -0.5
	v_fma_f64 v[124:125], v[152:153], s[6:7], v[124:125]
	v_fma_f64 v[108:109], v[128:129], s[6:7], v[108:109]
	v_add_f64 v[72:73], v[88:89], v[100:101]
	v_add_f64 v[172:173], v[195:196], -v[199:200]
	v_fma_f64 v[96:97], v[96:97], 0.5, v[76:77]
	v_add_f64 v[76:77], v[88:89], -v[100:101]
	v_fma_f64 v[128:129], v[84:85], s[6:7], v[144:145]
	v_fma_f64 v[144:145], v[86:87], s[4:5], v[146:147]
	v_mul_f64 v[100:101], v[166:167], s[6:7]
	v_add_f64 v[174:175], v[68:69], -v[56:57]
	v_add_f64 v[138:139], v[70:71], -v[60:61]
	v_add_f64 v[110:111], v[110:111], v[183:184]
	v_add_f64 v[118:119], v[118:119], v[187:188]
	;; [unrolled: 1-line block ×3, first 2 shown]
	v_fma_f64 v[136:137], v[136:137], -0.5, v[66:67]
	v_fma_f64 v[90:91], v[90:91], 0.5, v[78:79]
	v_add_f64 v[74:75], v[94:95], v[104:105]
	v_add_f64 v[78:79], v[94:95], -v[104:105]
	v_fma_f64 v[146:147], v[116:117], s[6:7], v[114:115]
	v_fma_f64 v[114:115], v[116:117], s[4:5], v[114:115]
	;; [unrolled: 1-line block ×3, first 2 shown]
	v_mul_f64 v[104:105], v[170:171], -0.5
	v_fma_f64 v[120:121], v[122:123], s[6:7], v[120:121]
	v_fma_f64 v[112:113], v[112:113], 0.5, v[80:81]
	v_fma_f64 v[116:117], v[106:107], s[6:7], v[177:178]
	v_fma_f64 v[177:178], v[156:157], s[6:7], v[148:149]
	v_fma_f64 v[122:123], v[126:127], 0.5, v[179:180]
	v_fma_f64 v[126:127], v[140:141], s[4:5], v[181:182]
	v_mul_f64 v[140:141], v[124:125], s[4:5]
	v_mul_f64 v[179:180], v[108:109], -0.5
	v_add_f64 v[94:95], v[98:99], v[144:145]
	v_add_f64 v[98:99], v[98:99], -v[144:145]
	v_fma_f64 v[144:145], v[156:157], s[4:5], v[148:149]
	v_add_f64 v[148:149], v[168:169], v[201:202]
	v_add_f64 v[154:155], v[154:155], v[203:204]
	v_fma_f64 v[156:157], v[124:125], 0.5, v[100:101]
	v_add_f64 v[181:182], v[130:131], v[205:206]
	v_add_f64 v[130:131], v[52:53], v[58:59]
	ds_read_b128 v[8:11], v176 offset:2880
	ds_read_b128 v[4:7], v176 offset:3840
	v_add_f64 v[80:81], v[110:111], v[132:133]
	v_add_f64 v[84:85], v[82:83], v[96:97]
	;; [unrolled: 1-line block ×3, first 2 shown]
	v_add_f64 v[88:89], v[82:83], -v[96:97]
	v_add_f64 v[90:91], v[92:93], -v[90:91]
	v_add_f64 v[92:93], v[102:103], v[128:129]
	v_add_f64 v[96:97], v[102:103], -v[128:129]
	v_fma_f64 v[168:169], v[108:109], s[6:7], v[104:105]
	v_add_f64 v[100:101], v[146:147], v[112:113]
	v_add_f64 v[104:105], v[114:115], v[116:117]
	;; [unrolled: 1-line block ×5, first 2 shown]
	v_fma_f64 v[183:184], v[138:139], s[4:5], v[158:159]
	v_fma_f64 v[185:186], v[172:173], s[4:5], v[150:151]
	;; [unrolled: 1-line block ×3, first 2 shown]
	v_fma_f64 v[140:141], v[166:167], 0.5, v[140:141]
	v_fma_f64 v[166:167], v[170:171], s[4:5], v[179:180]
	v_add_f64 v[108:109], v[110:111], -v[132:133]
	v_add_f64 v[112:113], v[146:147], -v[112:113]
	;; [unrolled: 1-line block ×4, first 2 shown]
	v_fma_f64 v[132:133], v[174:175], s[4:5], v[136:137]
	v_add_f64 v[114:115], v[152:153], -v[122:123]
	v_add_f64 v[118:119], v[120:121], -v[126:127]
	v_add_f64 v[120:121], v[142:143], v[154:155]
	v_add_f64 v[124:125], v[177:178], v[156:157]
	v_add_f64 v[122:123], v[148:149], v[181:182]
	s_waitcnt lgkmcnt(1)
	v_add_f64 v[134:135], v[8:9], v[52:53]
	v_add_f64 v[146:147], v[64:65], v[54:55]
	;; [unrolled: 1-line block ×4, first 2 shown]
	v_fma_f64 v[172:173], v[130:131], -0.5, v[8:9]
	v_add_f64 v[70:71], v[66:67], v[70:71]
	v_add_f64 v[179:180], v[64:65], -v[54:55]
	v_add_f64 v[66:67], v[142:143], -v[154:155]
	v_add_f64 v[142:143], v[10:11], v[64:65]
	v_add_f64 v[154:155], v[62:63], v[68:69]
	v_fma_f64 v[138:139], v[138:139], s[6:7], v[158:159]
	v_add_f64 v[62:63], v[177:178], -v[156:157]
	v_add_f64 v[68:69], v[148:149], -v[181:182]
	v_add_f64 v[148:149], v[42:43], v[22:23]
	v_add_f64 v[156:157], v[32:33], v[24:25]
	;; [unrolled: 1-line block ×3, first 2 shown]
	v_fma_f64 v[136:137], v[174:175], s[6:7], v[136:137]
	v_mul_f64 v[174:175], v[183:184], s[6:7]
	v_add_f64 v[126:127], v[185:186], v[140:141]
	v_mul_f64 v[158:159], v[132:133], -0.5
	v_add_f64 v[8:9], v[144:145], -v[168:169]
	v_add_f64 v[144:145], v[44:45], v[48:49]
	v_add_f64 v[64:65], v[185:186], -v[140:141]
	v_fma_f64 v[140:141], v[146:147], -0.5, v[10:11]
	v_fma_f64 v[146:147], v[152:153], -0.5, v[20:21]
	;; [unrolled: 1-line block ×3, first 2 shown]
	v_add_f64 v[168:169], v[34:35], -v[14:15]
	v_add_f64 v[170:171], v[30:31], -v[12:13]
	;; [unrolled: 1-line block ×3, first 2 shown]
	v_add_f64 v[58:59], v[134:135], v[58:59]
	v_fma_f64 v[134:135], v[179:180], s[6:7], v[172:173]
	v_fma_f64 v[172:173], v[179:180], s[4:5], v[172:173]
	v_add_f64 v[54:55], v[142:143], v[54:55]
	v_add_f64 v[56:57], v[154:155], v[56:57]
	v_mul_f64 v[142:143], v[138:139], -0.5
	s_waitcnt lgkmcnt(0)
	v_add_f64 v[154:155], v[4:5], v[44:45]
	v_fma_f64 v[148:149], v[148:149], -0.5, v[38:39]
	v_fma_f64 v[156:157], v[156:157], -0.5, v[28:29]
	v_add_f64 v[177:178], v[42:43], -v[22:23]
	v_add_f64 v[179:180], v[32:33], -v[24:25]
	v_add_f64 v[130:131], v[150:151], v[166:167]
	v_add_f64 v[60:61], v[70:71], v[60:61]
	v_fma_f64 v[70:71], v[136:137], 0.5, v[174:175]
	v_add_f64 v[174:175], v[50:51], v[36:37]
	v_mul_f64 v[136:137], v[136:137], s[4:5]
	v_fma_f64 v[144:145], v[144:145], -0.5, v[4:5]
	v_add_f64 v[181:182], v[50:51], -v[36:37]
	v_fma_f64 v[138:139], v[138:139], s[6:7], v[158:159]
	v_add_f64 v[10:11], v[150:151], -v[166:167]
	v_fma_f64 v[150:151], v[168:169], s[4:5], v[152:153]
	v_fma_f64 v[158:159], v[170:171], s[4:5], v[146:147]
	;; [unrolled: 1-line block ×3, first 2 shown]
	v_add_f64 v[50:51], v[6:7], v[50:51]
	v_fma_f64 v[52:53], v[52:53], s[6:7], v[140:141]
	v_fma_f64 v[140:141], v[170:171], s[6:7], v[146:147]
	;; [unrolled: 1-line block ×3, first 2 shown]
	v_add_f64 v[152:153], v[40:41], v[16:17]
	v_add_f64 v[168:169], v[46:47], v[26:27]
	v_add_f64 v[170:171], v[44:45], -v[48:49]
	v_fma_f64 v[132:133], v[132:133], s[4:5], v[142:143]
	v_add_f64 v[48:49], v[154:155], v[48:49]
	v_fma_f64 v[142:143], v[177:178], s[4:5], v[156:157]
	v_fma_f64 v[154:155], v[179:180], s[4:5], v[148:149]
	;; [unrolled: 1-line block ×3, first 2 shown]
	v_add_f64 v[20:21], v[20:21], v[34:35]
	v_fma_f64 v[34:35], v[177:178], s[6:7], v[156:157]
	v_fma_f64 v[6:7], v[174:175], -0.5, v[6:7]
	v_fma_f64 v[136:137], v[183:184], 0.5, v[136:137]
	v_fma_f64 v[174:175], v[181:182], s[6:7], v[144:145]
	v_fma_f64 v[144:145], v[181:182], s[4:5], v[144:145]
	v_add_f64 v[30:31], v[18:19], v[30:31]
	v_mul_f64 v[156:157], v[150:151], s[6:7]
	v_mul_f64 v[177:178], v[158:159], -0.5
	v_add_f64 v[181:182], v[0:1], v[40:41]
	v_add_f64 v[50:51], v[50:51], v[36:37]
	v_add_f64 v[183:184], v[2:3], v[46:47]
	v_mul_f64 v[36:37], v[140:141], s[4:5]
	v_mul_f64 v[179:180], v[146:147], -0.5
	v_fma_f64 v[152:153], v[152:153], -0.5, v[0:1]
	v_fma_f64 v[168:169], v[168:169], -0.5, v[2:3]
	v_add_f64 v[185:186], v[46:47], -v[26:27]
	v_add_f64 v[40:41], v[40:41], -v[16:17]
	v_add_f64 v[38:39], v[38:39], v[42:43]
	v_mul_f64 v[42:43], v[142:143], s[6:7]
	v_mul_f64 v[189:190], v[154:155], -0.5
	v_add_f64 v[28:29], v[28:29], v[32:33]
	v_mul_f64 v[32:33], v[148:149], s[4:5]
	v_add_f64 v[191:192], v[20:21], v[14:15]
	v_mul_f64 v[20:21], v[34:35], -0.5
	v_add_f64 v[4:5], v[58:59], v[60:61]
	v_add_f64 v[44:45], v[134:135], v[70:71]
	v_fma_f64 v[187:188], v[170:171], s[4:5], v[6:7]
	v_fma_f64 v[170:171], v[170:171], s[6:7], v[6:7]
	v_fma_f64 v[140:141], v[140:141], 0.5, v[156:157]
	v_fma_f64 v[146:147], v[146:147], s[6:7], v[177:178]
	v_add_f64 v[14:15], v[58:59], -v[60:61]
	v_add_f64 v[18:19], v[134:135], -v[70:71]
	v_add_f64 v[12:13], v[30:31], v[12:13]
	v_fma_f64 v[58:59], v[150:151], 0.5, v[36:37]
	v_fma_f64 v[60:61], v[158:159], s[4:5], v[179:180]
	v_add_f64 v[70:71], v[181:182], v[16:17]
	v_add_f64 v[156:157], v[183:184], v[26:27]
	v_fma_f64 v[150:151], v[185:186], s[6:7], v[152:153]
	v_fma_f64 v[152:153], v[185:186], s[4:5], v[152:153]
	;; [unrolled: 1-line block ×4, first 2 shown]
	v_add_f64 v[177:178], v[38:39], v[22:23]
	v_fma_f64 v[42:43], v[148:149], 0.5, v[42:43]
	v_fma_f64 v[148:149], v[34:35], s[6:7], v[189:190]
	v_add_f64 v[179:180], v[28:29], v[24:25]
	v_fma_f64 v[181:182], v[142:143], 0.5, v[32:33]
	v_fma_f64 v[154:155], v[154:155], s[4:5], v[20:21]
	v_add_f64 v[6:7], v[54:55], v[56:57]
	v_add_f64 v[46:47], v[166:167], v[136:137]
	;; [unrolled: 1-line block ×4, first 2 shown]
	v_add_f64 v[16:17], v[54:55], -v[56:57]
	v_add_f64 v[22:23], v[172:173], -v[138:139]
	;; [unrolled: 1-line block ×4, first 2 shown]
	v_add_f64 v[26:27], v[48:49], v[191:192]
	v_add_f64 v[30:31], v[174:175], v[140:141]
	;; [unrolled: 1-line block ×6, first 2 shown]
	v_add_f64 v[38:39], v[48:49], -v[191:192]
	v_add_f64 v[48:49], v[174:175], -v[140:141]
	;; [unrolled: 1-line block ×6, first 2 shown]
	v_add_f64 v[56:57], v[70:71], v[177:178]
	v_add_f64 v[132:133], v[150:151], v[42:43]
	;; [unrolled: 1-line block ×6, first 2 shown]
	v_add_f64 v[140:141], v[70:71], -v[177:178]
	v_add_f64 v[144:145], v[150:151], -v[42:43]
	;; [unrolled: 1-line block ×6, first 2 shown]
	s_barrier
	buffer_gl0_inv
	ds_write_b128 v176, v[72:75]
	ds_write_b128 v176, v[84:87] offset:5760
	ds_write_b128 v176, v[92:95] offset:11520
	;; [unrolled: 1-line block ×35, first 2 shown]
	s_waitcnt lgkmcnt(0)
	s_barrier
	buffer_gl0_inv
	s_and_saveexec_b32 s0, vcc_lo
	s_cbranch_execz .LBB0_23
; %bb.22:
	v_mul_lo_u32 v0, s3, v164
	v_mul_lo_u32 v3, s2, v165
	v_mad_u64_u32 v[1:2], null, s2, v164, 0
	v_mov_b32_e32 v161, 0
	v_lshlrev_b64 v[15:16], 4, v[162:163]
	v_add_nc_u32_e32 v17, 60, v160
	v_add_nc_u32_e32 v19, 0x78, v160
	;; [unrolled: 1-line block ×3, first 2 shown]
	v_mov_b32_e32 v18, v161
	v_add3_u32 v2, v2, v3, v0
	v_lshl_add_u32 v0, v160, 4, 0
	v_lshlrev_b64 v[21:22], 4, v[160:161]
	v_mov_b32_e32 v20, v161
	v_mov_b32_e32 v26, v161
	v_lshlrev_b64 v[1:2], 4, v[1:2]
	ds_read_b128 v[3:6], v0
	ds_read_b128 v[7:10], v0 offset:960
	ds_read_b128 v[11:14], v0 offset:1920
	v_add_nc_u32_e32 v29, 0x168, v160
	v_mov_b32_e32 v30, v161
	v_add_nc_u32_e32 v31, 0x1a4, v160
	v_add_co_u32 v1, vcc_lo, s10, v1
	v_add_co_ci_u32_e32 v2, vcc_lo, s11, v2, vcc_lo
	v_lshlrev_b64 v[29:30], 4, v[29:30]
	v_add_co_u32 v1, vcc_lo, v1, v15
	v_add_co_ci_u32_e32 v2, vcc_lo, v2, v16, vcc_lo
	v_lshlrev_b64 v[15:16], 4, v[17:18]
	v_add_co_u32 v21, vcc_lo, v1, v21
	v_lshlrev_b64 v[17:18], 4, v[19:20]
	v_add_co_ci_u32_e32 v22, vcc_lo, v2, v22, vcc_lo
	v_add_co_u32 v19, vcc_lo, v1, v15
	v_add_co_ci_u32_e32 v20, vcc_lo, v2, v16, vcc_lo
	v_add_co_u32 v23, vcc_lo, v1, v17
	v_add_co_ci_u32_e32 v24, vcc_lo, v2, v18, vcc_lo
	ds_read_b128 v[15:18], v0 offset:33600
	s_waitcnt lgkmcnt(3)
	global_store_dwordx4 v[21:22], v[3:6], off
	s_waitcnt lgkmcnt(2)
	global_store_dwordx4 v[19:20], v[7:10], off
	;; [unrolled: 2-line block ×3, first 2 shown]
	v_lshlrev_b64 v[3:4], 4, v[25:26]
	v_add_nc_u32_e32 v11, 0xf0, v160
	v_mov_b32_e32 v12, v161
	v_add_nc_u32_e32 v13, 0x12c, v160
	v_mov_b32_e32 v14, v161
	v_mov_b32_e32 v32, v161
	v_add_co_u32 v23, vcc_lo, v1, v3
	v_add_co_ci_u32_e32 v24, vcc_lo, v2, v4, vcc_lo
	ds_read_b128 v[3:6], v0 offset:2880
	ds_read_b128 v[7:10], v0 offset:3840
	v_lshlrev_b64 v[25:26], 4, v[11:12]
	v_lshlrev_b64 v[27:28], 4, v[13:14]
	ds_read_b128 v[11:14], v0 offset:4800
	ds_read_b128 v[19:22], v0 offset:5760
	v_add_co_u32 v25, vcc_lo, v1, v25
	v_add_co_ci_u32_e32 v26, vcc_lo, v2, v26, vcc_lo
	v_add_co_u32 v27, vcc_lo, v1, v27
	v_add_co_ci_u32_e32 v28, vcc_lo, v2, v28, vcc_lo
	;; [unrolled: 2-line block ×3, first 2 shown]
	s_waitcnt lgkmcnt(3)
	global_store_dwordx4 v[23:24], v[3:6], off
	s_waitcnt lgkmcnt(2)
	global_store_dwordx4 v[25:26], v[7:10], off
	s_waitcnt lgkmcnt(1)
	global_store_dwordx4 v[27:28], v[11:14], off
	s_waitcnt lgkmcnt(0)
	global_store_dwordx4 v[29:30], v[19:22], off
	v_lshlrev_b64 v[3:4], 4, v[31:32]
	v_add_nc_u32_e32 v11, 0x1e0, v160
	v_mov_b32_e32 v12, v161
	v_add_nc_u32_e32 v13, 0x21c, v160
	v_mov_b32_e32 v14, v161
	v_add_nc_u32_e32 v29, 0x258, v160
	v_add_co_u32 v23, vcc_lo, v1, v3
	v_add_co_ci_u32_e32 v24, vcc_lo, v2, v4, vcc_lo
	ds_read_b128 v[3:6], v0 offset:6720
	ds_read_b128 v[7:10], v0 offset:7680
	v_lshlrev_b64 v[25:26], 4, v[11:12]
	v_lshlrev_b64 v[27:28], 4, v[13:14]
	ds_read_b128 v[11:14], v0 offset:8640
	ds_read_b128 v[19:22], v0 offset:9600
	v_mov_b32_e32 v30, v161
	v_add_nc_u32_e32 v31, 0x294, v160
	v_add_co_u32 v25, vcc_lo, v1, v25
	v_lshlrev_b64 v[29:30], 4, v[29:30]
	v_add_co_ci_u32_e32 v26, vcc_lo, v2, v26, vcc_lo
	v_add_co_u32 v27, vcc_lo, v1, v27
	v_add_co_ci_u32_e32 v28, vcc_lo, v2, v28, vcc_lo
	v_add_co_u32 v29, vcc_lo, v1, v29
	v_add_co_ci_u32_e32 v30, vcc_lo, v2, v30, vcc_lo
	s_waitcnt lgkmcnt(3)
	global_store_dwordx4 v[23:24], v[3:6], off
	s_waitcnt lgkmcnt(2)
	global_store_dwordx4 v[25:26], v[7:10], off
	s_waitcnt lgkmcnt(1)
	global_store_dwordx4 v[27:28], v[11:14], off
	s_waitcnt lgkmcnt(0)
	global_store_dwordx4 v[29:30], v[19:22], off
	v_lshlrev_b64 v[3:4], 4, v[31:32]
	v_add_nc_u32_e32 v11, 0x2d0, v160
	v_mov_b32_e32 v12, v161
	v_add_nc_u32_e32 v13, 0x30c, v160
	v_mov_b32_e32 v14, v161
	v_add_nc_u32_e32 v29, 0x348, v160
	v_add_co_u32 v23, vcc_lo, v1, v3
	v_add_co_ci_u32_e32 v24, vcc_lo, v2, v4, vcc_lo
	ds_read_b128 v[3:6], v0 offset:10560
	ds_read_b128 v[7:10], v0 offset:11520
	v_lshlrev_b64 v[25:26], 4, v[11:12]
	v_lshlrev_b64 v[27:28], 4, v[13:14]
	ds_read_b128 v[11:14], v0 offset:12480
	ds_read_b128 v[19:22], v0 offset:13440
	v_mov_b32_e32 v30, v161
	v_add_nc_u32_e32 v31, 0x384, v160
	v_add_co_u32 v25, vcc_lo, v1, v25
	v_lshlrev_b64 v[29:30], 4, v[29:30]
	v_add_co_ci_u32_e32 v26, vcc_lo, v2, v26, vcc_lo
	v_add_co_u32 v27, vcc_lo, v1, v27
	v_add_co_ci_u32_e32 v28, vcc_lo, v2, v28, vcc_lo
	v_add_co_u32 v29, vcc_lo, v1, v29
	v_add_co_ci_u32_e32 v30, vcc_lo, v2, v30, vcc_lo
	;; [unrolled: 31-line block ×6, first 2 shown]
	s_waitcnt lgkmcnt(3)
	global_store_dwordx4 v[23:24], v[3:6], off
	s_waitcnt lgkmcnt(2)
	global_store_dwordx4 v[25:26], v[7:10], off
	;; [unrolled: 2-line block ×4, first 2 shown]
	v_lshlrev_b64 v[3:4], 4, v[31:32]
	v_add_nc_u32_e32 v11, 0x780, v160
	v_mov_b32_e32 v12, v161
	v_add_nc_u32_e32 v13, 0x7bc, v160
	v_mov_b32_e32 v14, v161
	v_add_nc_u32_e32 v29, 0x7f8, v160
	v_add_co_u32 v23, vcc_lo, v1, v3
	v_add_co_ci_u32_e32 v24, vcc_lo, v2, v4, vcc_lo
	ds_read_b128 v[3:6], v0 offset:29760
	ds_read_b128 v[7:10], v0 offset:30720
	v_lshlrev_b64 v[25:26], 4, v[11:12]
	v_lshlrev_b64 v[27:28], 4, v[13:14]
	ds_read_b128 v[11:14], v0 offset:31680
	ds_read_b128 v[19:22], v0 offset:32640
	v_mov_b32_e32 v30, v161
	v_add_nc_u32_e32 v160, 0x834, v160
	v_add_co_u32 v25, vcc_lo, v1, v25
	v_lshlrev_b64 v[29:30], 4, v[29:30]
	v_add_co_ci_u32_e32 v26, vcc_lo, v2, v26, vcc_lo
	v_add_co_u32 v27, vcc_lo, v1, v27
	v_lshlrev_b64 v[31:32], 4, v[160:161]
	v_add_co_ci_u32_e32 v28, vcc_lo, v2, v28, vcc_lo
	v_add_co_u32 v29, vcc_lo, v1, v29
	v_add_co_ci_u32_e32 v30, vcc_lo, v2, v30, vcc_lo
	v_add_co_u32 v0, vcc_lo, v1, v31
	v_add_co_ci_u32_e32 v1, vcc_lo, v2, v32, vcc_lo
	s_waitcnt lgkmcnt(3)
	global_store_dwordx4 v[23:24], v[3:6], off
	s_waitcnt lgkmcnt(2)
	global_store_dwordx4 v[25:26], v[7:10], off
	;; [unrolled: 2-line block ×4, first 2 shown]
	global_store_dwordx4 v[0:1], v[15:18], off
.LBB0_23:
	s_endpgm
	.section	.rodata,"a",@progbits
	.p2align	6, 0x0
	.amdhsa_kernel fft_rtc_fwd_len2160_factors_10_6_6_6_wgs_60_tpt_60_halfLds_dp_op_CI_CI_unitstride_sbrr_C2R_dirReg
		.amdhsa_group_segment_fixed_size 0
		.amdhsa_private_segment_fixed_size 0
		.amdhsa_kernarg_size 104
		.amdhsa_user_sgpr_count 6
		.amdhsa_user_sgpr_private_segment_buffer 1
		.amdhsa_user_sgpr_dispatch_ptr 0
		.amdhsa_user_sgpr_queue_ptr 0
		.amdhsa_user_sgpr_kernarg_segment_ptr 1
		.amdhsa_user_sgpr_dispatch_id 0
		.amdhsa_user_sgpr_flat_scratch_init 0
		.amdhsa_user_sgpr_private_segment_size 0
		.amdhsa_wavefront_size32 1
		.amdhsa_uses_dynamic_stack 0
		.amdhsa_system_sgpr_private_segment_wavefront_offset 0
		.amdhsa_system_sgpr_workgroup_id_x 1
		.amdhsa_system_sgpr_workgroup_id_y 0
		.amdhsa_system_sgpr_workgroup_id_z 0
		.amdhsa_system_sgpr_workgroup_info 0
		.amdhsa_system_vgpr_workitem_id 0
		.amdhsa_next_free_vgpr 215
		.amdhsa_next_free_sgpr 27
		.amdhsa_reserve_vcc 1
		.amdhsa_reserve_flat_scratch 0
		.amdhsa_float_round_mode_32 0
		.amdhsa_float_round_mode_16_64 0
		.amdhsa_float_denorm_mode_32 3
		.amdhsa_float_denorm_mode_16_64 3
		.amdhsa_dx10_clamp 1
		.amdhsa_ieee_mode 1
		.amdhsa_fp16_overflow 0
		.amdhsa_workgroup_processor_mode 1
		.amdhsa_memory_ordered 1
		.amdhsa_forward_progress 0
		.amdhsa_shared_vgpr_count 0
		.amdhsa_exception_fp_ieee_invalid_op 0
		.amdhsa_exception_fp_denorm_src 0
		.amdhsa_exception_fp_ieee_div_zero 0
		.amdhsa_exception_fp_ieee_overflow 0
		.amdhsa_exception_fp_ieee_underflow 0
		.amdhsa_exception_fp_ieee_inexact 0
		.amdhsa_exception_int_div_zero 0
	.end_amdhsa_kernel
	.text
.Lfunc_end0:
	.size	fft_rtc_fwd_len2160_factors_10_6_6_6_wgs_60_tpt_60_halfLds_dp_op_CI_CI_unitstride_sbrr_C2R_dirReg, .Lfunc_end0-fft_rtc_fwd_len2160_factors_10_6_6_6_wgs_60_tpt_60_halfLds_dp_op_CI_CI_unitstride_sbrr_C2R_dirReg
                                        ; -- End function
	.section	.AMDGPU.csdata,"",@progbits
; Kernel info:
; codeLenInByte = 26752
; NumSgprs: 29
; NumVgprs: 215
; ScratchSize: 0
; MemoryBound: 0
; FloatMode: 240
; IeeeMode: 1
; LDSByteSize: 0 bytes/workgroup (compile time only)
; SGPRBlocks: 3
; VGPRBlocks: 26
; NumSGPRsForWavesPerEU: 29
; NumVGPRsForWavesPerEU: 215
; Occupancy: 4
; WaveLimiterHint : 1
; COMPUTE_PGM_RSRC2:SCRATCH_EN: 0
; COMPUTE_PGM_RSRC2:USER_SGPR: 6
; COMPUTE_PGM_RSRC2:TRAP_HANDLER: 0
; COMPUTE_PGM_RSRC2:TGID_X_EN: 1
; COMPUTE_PGM_RSRC2:TGID_Y_EN: 0
; COMPUTE_PGM_RSRC2:TGID_Z_EN: 0
; COMPUTE_PGM_RSRC2:TIDIG_COMP_CNT: 0
	.text
	.p2alignl 6, 3214868480
	.fill 48, 4, 3214868480
	.type	__hip_cuid_66d5efcb8e89bb16,@object ; @__hip_cuid_66d5efcb8e89bb16
	.section	.bss,"aw",@nobits
	.globl	__hip_cuid_66d5efcb8e89bb16
__hip_cuid_66d5efcb8e89bb16:
	.byte	0                               ; 0x0
	.size	__hip_cuid_66d5efcb8e89bb16, 1

	.ident	"AMD clang version 19.0.0git (https://github.com/RadeonOpenCompute/llvm-project roc-6.4.0 25133 c7fe45cf4b819c5991fe208aaa96edf142730f1d)"
	.section	".note.GNU-stack","",@progbits
	.addrsig
	.addrsig_sym __hip_cuid_66d5efcb8e89bb16
	.amdgpu_metadata
---
amdhsa.kernels:
  - .args:
      - .actual_access:  read_only
        .address_space:  global
        .offset:         0
        .size:           8
        .value_kind:     global_buffer
      - .offset:         8
        .size:           8
        .value_kind:     by_value
      - .actual_access:  read_only
        .address_space:  global
        .offset:         16
        .size:           8
        .value_kind:     global_buffer
      - .actual_access:  read_only
        .address_space:  global
        .offset:         24
        .size:           8
        .value_kind:     global_buffer
      - .actual_access:  read_only
        .address_space:  global
        .offset:         32
        .size:           8
        .value_kind:     global_buffer
      - .offset:         40
        .size:           8
        .value_kind:     by_value
      - .actual_access:  read_only
        .address_space:  global
        .offset:         48
        .size:           8
        .value_kind:     global_buffer
      - .actual_access:  read_only
        .address_space:  global
        .offset:         56
        .size:           8
        .value_kind:     global_buffer
      - .offset:         64
        .size:           4
        .value_kind:     by_value
      - .actual_access:  read_only
        .address_space:  global
        .offset:         72
        .size:           8
        .value_kind:     global_buffer
      - .actual_access:  read_only
        .address_space:  global
        .offset:         80
        .size:           8
        .value_kind:     global_buffer
      - .actual_access:  read_only
        .address_space:  global
        .offset:         88
        .size:           8
        .value_kind:     global_buffer
      - .actual_access:  write_only
        .address_space:  global
        .offset:         96
        .size:           8
        .value_kind:     global_buffer
    .group_segment_fixed_size: 0
    .kernarg_segment_align: 8
    .kernarg_segment_size: 104
    .language:       OpenCL C
    .language_version:
      - 2
      - 0
    .max_flat_workgroup_size: 60
    .name:           fft_rtc_fwd_len2160_factors_10_6_6_6_wgs_60_tpt_60_halfLds_dp_op_CI_CI_unitstride_sbrr_C2R_dirReg
    .private_segment_fixed_size: 0
    .sgpr_count:     29
    .sgpr_spill_count: 0
    .symbol:         fft_rtc_fwd_len2160_factors_10_6_6_6_wgs_60_tpt_60_halfLds_dp_op_CI_CI_unitstride_sbrr_C2R_dirReg.kd
    .uniform_work_group_size: 1
    .uses_dynamic_stack: false
    .vgpr_count:     215
    .vgpr_spill_count: 0
    .wavefront_size: 32
    .workgroup_processor_mode: 1
amdhsa.target:   amdgcn-amd-amdhsa--gfx1030
amdhsa.version:
  - 1
  - 2
...

	.end_amdgpu_metadata
